;; amdgpu-corpus repo=ROCm/rocFFT kind=compiled arch=gfx906 opt=O3
	.text
	.amdgcn_target "amdgcn-amd-amdhsa--gfx906"
	.amdhsa_code_object_version 6
	.protected	fft_rtc_back_len2016_factors_2_2_2_2_2_3_3_7_wgs_224_tpt_112_halfLds_half_ip_CI_unitstride_sbrr_R2C_dirReg ; -- Begin function fft_rtc_back_len2016_factors_2_2_2_2_2_3_3_7_wgs_224_tpt_112_halfLds_half_ip_CI_unitstride_sbrr_R2C_dirReg
	.globl	fft_rtc_back_len2016_factors_2_2_2_2_2_3_3_7_wgs_224_tpt_112_halfLds_half_ip_CI_unitstride_sbrr_R2C_dirReg
	.p2align	8
	.type	fft_rtc_back_len2016_factors_2_2_2_2_2_3_3_7_wgs_224_tpt_112_halfLds_half_ip_CI_unitstride_sbrr_R2C_dirReg,@function
fft_rtc_back_len2016_factors_2_2_2_2_2_3_3_7_wgs_224_tpt_112_halfLds_half_ip_CI_unitstride_sbrr_R2C_dirReg: ; @fft_rtc_back_len2016_factors_2_2_2_2_2_3_3_7_wgs_224_tpt_112_halfLds_half_ip_CI_unitstride_sbrr_R2C_dirReg
; %bb.0:
	s_load_dwordx2 s[12:13], s[4:5], 0x50
	s_load_dwordx4 s[8:11], s[4:5], 0x0
	s_load_dwordx2 s[2:3], s[4:5], 0x18
	v_mul_u32_u24_e32 v1, 0x24a, v0
	v_lshrrev_b32_e32 v9, 16, v1
	v_mov_b32_e32 v3, 0
	s_waitcnt lgkmcnt(0)
	v_cmp_lt_u64_e64 s[0:1], s[10:11], 2
	v_mov_b32_e32 v1, 0
	v_lshl_add_u32 v5, s6, 1, v9
	v_mov_b32_e32 v6, v3
	s_and_b64 vcc, exec, s[0:1]
	v_mov_b32_e32 v2, 0
	s_cbranch_vccnz .LBB0_8
; %bb.1:
	s_load_dwordx2 s[0:1], s[4:5], 0x10
	s_add_u32 s6, s2, 8
	s_addc_u32 s7, s3, 0
	v_mov_b32_e32 v1, 0
	v_mov_b32_e32 v2, 0
	s_waitcnt lgkmcnt(0)
	s_add_u32 s14, s0, 8
	s_addc_u32 s15, s1, 0
	s_mov_b64 s[16:17], 1
.LBB0_2:                                ; =>This Inner Loop Header: Depth=1
	s_load_dwordx2 s[18:19], s[14:15], 0x0
                                        ; implicit-def: $vgpr7_vgpr8
	s_waitcnt lgkmcnt(0)
	v_or_b32_e32 v4, s19, v6
	v_cmp_ne_u64_e32 vcc, 0, v[3:4]
	s_and_saveexec_b64 s[0:1], vcc
	s_xor_b64 s[20:21], exec, s[0:1]
	s_cbranch_execz .LBB0_4
; %bb.3:                                ;   in Loop: Header=BB0_2 Depth=1
	v_cvt_f32_u32_e32 v4, s18
	v_cvt_f32_u32_e32 v7, s19
	s_sub_u32 s0, 0, s18
	s_subb_u32 s1, 0, s19
	v_mac_f32_e32 v4, 0x4f800000, v7
	v_rcp_f32_e32 v4, v4
	v_mul_f32_e32 v4, 0x5f7ffffc, v4
	v_mul_f32_e32 v7, 0x2f800000, v4
	v_trunc_f32_e32 v7, v7
	v_mac_f32_e32 v4, 0xcf800000, v7
	v_cvt_u32_f32_e32 v7, v7
	v_cvt_u32_f32_e32 v4, v4
	v_mul_lo_u32 v8, s0, v7
	v_mul_hi_u32 v10, s0, v4
	v_mul_lo_u32 v12, s1, v4
	v_mul_lo_u32 v11, s0, v4
	v_add_u32_e32 v8, v10, v8
	v_add_u32_e32 v8, v8, v12
	v_mul_hi_u32 v10, v4, v11
	v_mul_lo_u32 v12, v4, v8
	v_mul_hi_u32 v14, v4, v8
	v_mul_hi_u32 v13, v7, v11
	v_mul_lo_u32 v11, v7, v11
	v_mul_hi_u32 v15, v7, v8
	v_add_co_u32_e32 v10, vcc, v10, v12
	v_addc_co_u32_e32 v12, vcc, 0, v14, vcc
	v_mul_lo_u32 v8, v7, v8
	v_add_co_u32_e32 v10, vcc, v10, v11
	v_addc_co_u32_e32 v10, vcc, v12, v13, vcc
	v_addc_co_u32_e32 v11, vcc, 0, v15, vcc
	v_add_co_u32_e32 v8, vcc, v10, v8
	v_addc_co_u32_e32 v10, vcc, 0, v11, vcc
	v_add_co_u32_e32 v4, vcc, v4, v8
	v_addc_co_u32_e32 v7, vcc, v7, v10, vcc
	v_mul_lo_u32 v8, s0, v7
	v_mul_hi_u32 v10, s0, v4
	v_mul_lo_u32 v11, s1, v4
	v_mul_lo_u32 v12, s0, v4
	v_add_u32_e32 v8, v10, v8
	v_add_u32_e32 v8, v8, v11
	v_mul_lo_u32 v13, v4, v8
	v_mul_hi_u32 v14, v4, v12
	v_mul_hi_u32 v15, v4, v8
	;; [unrolled: 1-line block ×3, first 2 shown]
	v_mul_lo_u32 v12, v7, v12
	v_mul_hi_u32 v10, v7, v8
	v_add_co_u32_e32 v13, vcc, v14, v13
	v_addc_co_u32_e32 v14, vcc, 0, v15, vcc
	v_mul_lo_u32 v8, v7, v8
	v_add_co_u32_e32 v12, vcc, v13, v12
	v_addc_co_u32_e32 v11, vcc, v14, v11, vcc
	v_addc_co_u32_e32 v10, vcc, 0, v10, vcc
	v_add_co_u32_e32 v8, vcc, v11, v8
	v_addc_co_u32_e32 v10, vcc, 0, v10, vcc
	v_add_co_u32_e32 v4, vcc, v4, v8
	v_addc_co_u32_e32 v10, vcc, v7, v10, vcc
	v_mad_u64_u32 v[7:8], s[0:1], v5, v10, 0
	v_mul_hi_u32 v11, v5, v4
	v_add_co_u32_e32 v12, vcc, v11, v7
	v_addc_co_u32_e32 v13, vcc, 0, v8, vcc
	v_mad_u64_u32 v[7:8], s[0:1], v6, v4, 0
	v_mad_u64_u32 v[10:11], s[0:1], v6, v10, 0
	v_add_co_u32_e32 v4, vcc, v12, v7
	v_addc_co_u32_e32 v4, vcc, v13, v8, vcc
	v_addc_co_u32_e32 v7, vcc, 0, v11, vcc
	v_add_co_u32_e32 v4, vcc, v4, v10
	v_addc_co_u32_e32 v10, vcc, 0, v7, vcc
	v_mul_lo_u32 v11, s19, v4
	v_mul_lo_u32 v12, s18, v10
	v_mad_u64_u32 v[7:8], s[0:1], s18, v4, 0
	v_add3_u32 v8, v8, v12, v11
	v_sub_u32_e32 v11, v6, v8
	v_mov_b32_e32 v12, s19
	v_sub_co_u32_e32 v7, vcc, v5, v7
	v_subb_co_u32_e64 v11, s[0:1], v11, v12, vcc
	v_subrev_co_u32_e64 v12, s[0:1], s18, v7
	v_subbrev_co_u32_e64 v11, s[0:1], 0, v11, s[0:1]
	v_cmp_le_u32_e64 s[0:1], s19, v11
	v_cndmask_b32_e64 v13, 0, -1, s[0:1]
	v_cmp_le_u32_e64 s[0:1], s18, v12
	v_cndmask_b32_e64 v12, 0, -1, s[0:1]
	v_cmp_eq_u32_e64 s[0:1], s19, v11
	v_cndmask_b32_e64 v11, v13, v12, s[0:1]
	v_add_co_u32_e64 v12, s[0:1], 2, v4
	v_addc_co_u32_e64 v13, s[0:1], 0, v10, s[0:1]
	v_add_co_u32_e64 v14, s[0:1], 1, v4
	v_addc_co_u32_e64 v15, s[0:1], 0, v10, s[0:1]
	v_subb_co_u32_e32 v8, vcc, v6, v8, vcc
	v_cmp_ne_u32_e64 s[0:1], 0, v11
	v_cmp_le_u32_e32 vcc, s19, v8
	v_cndmask_b32_e64 v11, v15, v13, s[0:1]
	v_cndmask_b32_e64 v13, 0, -1, vcc
	v_cmp_le_u32_e32 vcc, s18, v7
	v_cndmask_b32_e64 v7, 0, -1, vcc
	v_cmp_eq_u32_e32 vcc, s19, v8
	v_cndmask_b32_e32 v7, v13, v7, vcc
	v_cmp_ne_u32_e32 vcc, 0, v7
	v_cndmask_b32_e64 v7, v14, v12, s[0:1]
	v_cndmask_b32_e32 v8, v10, v11, vcc
	v_cndmask_b32_e32 v7, v4, v7, vcc
.LBB0_4:                                ;   in Loop: Header=BB0_2 Depth=1
	s_andn2_saveexec_b64 s[0:1], s[20:21]
	s_cbranch_execz .LBB0_6
; %bb.5:                                ;   in Loop: Header=BB0_2 Depth=1
	v_cvt_f32_u32_e32 v4, s18
	s_sub_i32 s20, 0, s18
	v_rcp_iflag_f32_e32 v4, v4
	v_mul_f32_e32 v4, 0x4f7ffffe, v4
	v_cvt_u32_f32_e32 v4, v4
	v_mul_lo_u32 v7, s20, v4
	v_mul_hi_u32 v7, v4, v7
	v_add_u32_e32 v4, v4, v7
	v_mul_hi_u32 v4, v5, v4
	v_mul_lo_u32 v7, v4, s18
	v_add_u32_e32 v8, 1, v4
	v_sub_u32_e32 v7, v5, v7
	v_subrev_u32_e32 v10, s18, v7
	v_cmp_le_u32_e32 vcc, s18, v7
	v_cndmask_b32_e32 v7, v7, v10, vcc
	v_cndmask_b32_e32 v4, v4, v8, vcc
	v_add_u32_e32 v8, 1, v4
	v_cmp_le_u32_e32 vcc, s18, v7
	v_cndmask_b32_e32 v7, v4, v8, vcc
	v_mov_b32_e32 v8, v3
.LBB0_6:                                ;   in Loop: Header=BB0_2 Depth=1
	s_or_b64 exec, exec, s[0:1]
	v_mul_lo_u32 v4, v8, s18
	v_mul_lo_u32 v12, v7, s19
	v_mad_u64_u32 v[10:11], s[0:1], v7, s18, 0
	s_load_dwordx2 s[0:1], s[6:7], 0x0
	s_add_u32 s16, s16, 1
	v_add3_u32 v4, v11, v12, v4
	v_sub_co_u32_e32 v5, vcc, v5, v10
	v_subb_co_u32_e32 v4, vcc, v6, v4, vcc
	s_waitcnt lgkmcnt(0)
	v_mul_lo_u32 v4, s0, v4
	v_mul_lo_u32 v6, s1, v5
	v_mad_u64_u32 v[1:2], s[0:1], s0, v5, v[1:2]
	s_addc_u32 s17, s17, 0
	s_add_u32 s6, s6, 8
	v_add3_u32 v2, v6, v2, v4
	v_mov_b32_e32 v4, s10
	v_mov_b32_e32 v5, s11
	s_addc_u32 s7, s7, 0
	v_cmp_ge_u64_e32 vcc, s[16:17], v[4:5]
	s_add_u32 s14, s14, 8
	s_addc_u32 s15, s15, 0
	s_cbranch_vccnz .LBB0_9
; %bb.7:                                ;   in Loop: Header=BB0_2 Depth=1
	v_mov_b32_e32 v5, v7
	v_mov_b32_e32 v6, v8
	s_branch .LBB0_2
.LBB0_8:
	v_mov_b32_e32 v8, v6
	v_mov_b32_e32 v7, v5
.LBB0_9:
	s_lshl_b64 s[0:1], s[10:11], 3
	s_add_u32 s0, s2, s0
	s_addc_u32 s1, s3, s1
	s_load_dwordx2 s[2:3], s[0:1], 0x0
	s_load_dwordx2 s[6:7], s[4:5], 0x20
	v_and_b32_e32 v5, 1, v9
                                        ; implicit-def: $vgpr18
                                        ; implicit-def: $vgpr16
                                        ; implicit-def: $vgpr14
                                        ; implicit-def: $vgpr12
                                        ; implicit-def: $vgpr10
                                        ; implicit-def: $vgpr6
	s_waitcnt lgkmcnt(0)
	v_mul_lo_u32 v3, s2, v8
	v_mul_lo_u32 v4, s3, v7
	v_mad_u64_u32 v[1:2], s[0:1], s2, v7, v[1:2]
	s_mov_b32 s2, 0x2492493
	v_cmp_gt_u64_e32 vcc, s[6:7], v[7:8]
	v_add3_u32 v2, v4, v2, v3
	v_mul_hi_u32 v4, v0, s2
	v_cmp_le_u64_e64 s[2:3], s[6:7], v[7:8]
	v_cmp_eq_u32_e64 s[0:1], 1, v5
	v_mov_b32_e32 v3, 0x7e1
	v_mul_u32_u24_e32 v4, 0x70, v4
	v_sub_u32_e32 v0, v0, v4
                                        ; implicit-def: $vgpr4
                                        ; implicit-def: $vgpr8
	s_and_saveexec_b64 s[4:5], s[2:3]
	s_xor_b64 s[2:3], exec, s[4:5]
; %bb.10:
	v_add_u32_e32 v4, 0x70, v0
	v_add_u32_e32 v18, 0xe0, v0
	;; [unrolled: 1-line block ×7, first 2 shown]
	v_or_b32_e32 v6, 0x380, v0
; %bb.11:
	s_or_saveexec_b64 s[2:3], s[2:3]
	v_cndmask_b32_e64 v5, 0, v3, s[0:1]
	v_lshlrev_b64 v[2:3], 2, v[1:2]
	v_lshlrev_b32_e32 v7, 2, v5
	v_lshlrev_b32_e32 v5, 2, v0
	s_xor_b64 exec, exec, s[2:3]
	s_cbranch_execz .LBB0_13
; %bb.12:
	v_mov_b32_e32 v1, 0
	v_mov_b32_e32 v4, s13
	v_add_co_u32_e64 v6, s[0:1], s12, v2
	v_lshlrev_b64 v[8:9], 2, v[0:1]
	v_addc_co_u32_e64 v4, s[0:1], v4, v3, s[0:1]
	v_or_b32_e32 v10, 0x700, v0
	v_mov_b32_e32 v11, v1
	v_add_co_u32_e64 v8, s[0:1], v6, v8
	v_lshlrev_b64 v[10:11], 2, v[10:11]
	v_addc_co_u32_e64 v9, s[0:1], v4, v9, s[0:1]
	v_add_co_u32_e64 v10, s[0:1], v6, v10
	s_movk_i32 s4, 0x1000
	v_addc_co_u32_e64 v11, s[0:1], v4, v11, s[0:1]
	v_add_co_u32_e64 v12, s[0:1], s4, v8
	global_load_dword v15, v[8:9], off
	global_load_dword v17, v[8:9], off offset:1344
	global_load_dword v19, v[8:9], off offset:1792
	;; [unrolled: 1-line block ×7, first 2 shown]
	v_addc_co_u32_e64 v13, s[0:1], 0, v9, s[0:1]
	global_load_dword v1, v[8:9], off offset:3584
	global_load_dword v6, v[8:9], off offset:4032
	;; [unrolled: 1-line block ×8, first 2 shown]
	global_load_dword v31, v[10:11], off
	global_load_dword v32, v[12:13], off offset:3520
	v_add3_u32 v9, 0, v7, v5
	v_add_u32_e32 v11, 0x200, v9
	v_add_u32_e32 v4, 0x70, v0
	;; [unrolled: 1-line block ×15, first 2 shown]
	s_waitcnt vmcnt(11)
	ds_write2_b32 v11, v23, v17 offset0:96 offset1:208
	ds_write2_b32 v13, v19, v20 offset0:64 offset1:176
	s_waitcnt vmcnt(10)
	ds_write2_b32 v9, v15, v24 offset1:112
	ds_write2_b32 v33, v21, v22 offset0:32 offset1:144
	s_waitcnt vmcnt(8)
	ds_write2_b32 v34, v1, v6 offset0:128 offset1:240
	s_waitcnt vmcnt(6)
	;; [unrolled: 2-line block ×5, first 2 shown]
	ds_write2_b32 v38, v31, v32 offset1:112
	v_or_b32_e32 v6, 0x380, v0
.LBB0_13:
	s_or_b64 exec, exec, s[2:3]
	v_add3_u32 v1, 0, v5, v7
	v_add_u32_e32 v34, 0, v7
	v_add_u32_e32 v22, 0xe00, v1
	s_waitcnt lgkmcnt(0)
	s_barrier
	v_add_u32_e32 v33, v34, v5
	ds_read2_b32 v[19:20], v22 offset0:112 offset1:224
	ds_read_b32 v9, v33
	ds_read_b32 v39, v1 offset:7616
	v_add_u32_e32 v11, 0xc00, v1
	v_add_u32_e32 v15, 0x800, v1
	;; [unrolled: 1-line block ×3, first 2 shown]
	s_waitcnt lgkmcnt(1)
	v_pk_add_f16 v19, v9, v19 neg_lo:[0,1] neg_hi:[0,1]
	v_pk_fma_f16 v40, v9, 2.0, v19 op_sel_hi:[1,0,1] neg_lo:[0,0,1] neg_hi:[0,0,1]
	v_add_u32_e32 v9, 0x1a00, v1
	v_add_u32_e32 v17, 0x400, v1
	;; [unrolled: 1-line block ×3, first 2 shown]
	ds_read2_b32 v[23:24], v11 offset0:16 offset1:128
	ds_read2_b32 v[25:26], v9 offset0:16 offset1:128
	;; [unrolled: 1-line block ×7, first 2 shown]
	v_add_u32_e32 v41, v1, v5
	s_waitcnt lgkmcnt(0)
	s_barrier
	ds_write2_b32 v41, v40, v19 offset1:1
	v_pk_add_f16 v19, v37, v20 neg_lo:[0,1] neg_hi:[0,1]
	v_lshl_add_u32 v20, v4, 3, v34
	v_pk_fma_f16 v37, v37, 2.0, v19 op_sel_hi:[1,0,1] neg_lo:[0,0,1] neg_hi:[0,0,1]
	ds_write2_b32 v20, v37, v19 offset1:1
	v_pk_add_f16 v19, v38, v35 neg_lo:[0,1] neg_hi:[0,1]
	v_pk_fma_f16 v20, v38, 2.0, v19 op_sel_hi:[1,0,1] neg_lo:[0,0,1] neg_hi:[0,0,1]
	v_lshl_add_u32 v35, v18, 3, v34
	ds_write2_b32 v35, v20, v19 offset1:1
	v_pk_add_f16 v19, v31, v36 neg_lo:[0,1] neg_hi:[0,1]
	v_lshl_add_u32 v20, v16, 3, v34
	v_pk_fma_f16 v31, v31, 2.0, v19 op_sel_hi:[1,0,1] neg_lo:[0,0,1] neg_hi:[0,0,1]
	ds_write2_b32 v20, v31, v19 offset1:1
	v_pk_add_f16 v19, v32, v29 neg_lo:[0,1] neg_hi:[0,1]
	v_pk_fma_f16 v29, v32, 2.0, v19 op_sel_hi:[1,0,1] neg_lo:[0,0,1] neg_hi:[0,0,1]
	v_lshl_add_u32 v31, v14, 3, v34
	;; [unrolled: 8-line block ×4, first 2 shown]
	v_and_b32_e32 v41, 1, v0
	ds_write2_b32 v32, v23, v19 offset1:1
	v_lshlrev_b32_e32 v19, 2, v41
	s_waitcnt lgkmcnt(0)
	s_barrier
	global_load_dword v42, v19, s[8:9]
	v_lshlrev_b32_e32 v23, 2, v18
	v_lshlrev_b32_e32 v24, 2, v16
	;; [unrolled: 1-line block ×4, first 2 shown]
	v_sub_u32_e32 v36, v35, v23
	v_sub_u32_e32 v23, v20, v24
	;; [unrolled: 1-line block ×4, first 2 shown]
	ds_read2_b32 v[29:30], v22 offset0:112 offset1:224
	v_lshlrev_b32_e32 v37, 2, v10
	v_lshlrev_b32_e32 v38, 2, v8
	;; [unrolled: 1-line block ×3, first 2 shown]
	v_sub_u32_e32 v26, v27, v37
	v_sub_u32_e32 v27, v28, v38
	;; [unrolled: 1-line block ×3, first 2 shown]
	s_mov_b32 s0, 0xffff
	s_movk_i32 s1, 0xfc
	v_lshlrev_b32_e32 v19, 1, v0
	v_and_or_b32 v40, v19, s1, v41
	v_lshl_add_u32 v35, v4, 2, v34
	v_lshl_add_u32 v20, v40, 2, v34
	s_movk_i32 s1, 0x1fc
	s_movk_i32 s2, 0x5fc
	;; [unrolled: 1-line block ×3, first 2 shown]
	s_mov_b32 s4, 0xaaab
	s_waitcnt vmcnt(0) lgkmcnt(0)
	v_pk_mul_f16 v31, v42, v29 op_sel:[0,1]
	v_pk_fma_f16 v32, v42, v29, v31 op_sel:[0,0,1] op_sel_hi:[1,1,0]
	v_pk_fma_f16 v29, v42, v29, v31 op_sel:[0,0,1] op_sel_hi:[1,0,0] neg_lo:[1,0,0] neg_hi:[1,0,0]
	ds_read_b32 v43, v23
	ds_read_b32 v44, v24
	;; [unrolled: 1-line block ×5, first 2 shown]
	ds_read_b32 v47, v1 offset:7616
	v_bfi_b32 v29, s0, v32, v29
	ds_read_b32 v48, v36
	ds_read_b32 v49, v35
	s_waitcnt lgkmcnt(3)
	v_pk_add_f16 v29, v31, v29 neg_lo:[0,1] neg_hi:[0,1]
	v_pk_fma_f16 v50, v31, 2.0, v29 op_sel_hi:[1,0,1] neg_lo:[0,0,1] neg_hi:[0,0,1]
	ds_read_b32 v51, v27
	ds_read_b32 v52, v28
	ds_read2_b32 v[31:32], v21 offset0:80 offset1:192
	ds_read2_b32 v[37:38], v13 offset0:48 offset1:160
	;; [unrolled: 1-line block ×3, first 2 shown]
	s_waitcnt lgkmcnt(0)
	s_barrier
	ds_write2_b32 v20, v50, v29 offset1:2
	v_pk_mul_f16 v20, v42, v30 op_sel:[0,1]
	v_pk_fma_f16 v29, v42, v30, v20 op_sel:[0,0,1] op_sel_hi:[1,1,0]
	v_pk_fma_f16 v20, v42, v30, v20 op_sel:[0,0,1] op_sel_hi:[1,0,0] neg_lo:[1,0,0] neg_hi:[1,0,0]
	v_bfi_b32 v29, s0, v29, v20
	v_lshlrev_b32_e32 v20, 1, v4
	v_and_or_b32 v30, v20, s1, v41
	v_pk_add_f16 v29, v49, v29 neg_lo:[0,1] neg_hi:[0,1]
	v_lshl_add_u32 v30, v30, 2, v34
	v_pk_fma_f16 v49, v49, 2.0, v29 op_sel_hi:[1,0,1] neg_lo:[0,0,1] neg_hi:[0,0,1]
	ds_write2_b32 v30, v49, v29 offset1:2
	v_pk_mul_f16 v29, v42, v31 op_sel:[0,1]
	v_pk_fma_f16 v30, v42, v31, v29 op_sel:[0,0,1] op_sel_hi:[1,1,0]
	v_pk_fma_f16 v29, v42, v31, v29 op_sel:[0,0,1] op_sel_hi:[1,0,0] neg_lo:[1,0,0] neg_hi:[1,0,0]
	v_bfi_b32 v30, s0, v30, v29
	s_movk_i32 s1, 0x3fc
	v_lshlrev_b32_e32 v29, 1, v18
	v_and_or_b32 v31, v29, s1, v41
	v_pk_add_f16 v30, v48, v30 neg_lo:[0,1] neg_hi:[0,1]
	v_lshl_add_u32 v31, v31, 2, v34
	v_pk_fma_f16 v48, v48, 2.0, v30 op_sel_hi:[1,0,1] neg_lo:[0,0,1] neg_hi:[0,0,1]
	ds_write2_b32 v31, v48, v30 offset1:2
	v_pk_mul_f16 v30, v42, v32 op_sel:[0,1]
	v_pk_fma_f16 v31, v42, v32, v30 op_sel:[0,0,1] op_sel_hi:[1,1,0]
	v_pk_fma_f16 v30, v42, v32, v30 op_sel:[0,0,1] op_sel_hi:[1,0,0] neg_lo:[1,0,0] neg_hi:[1,0,0]
	v_bfi_b32 v31, s0, v31, v30
	v_lshlrev_b32_e32 v30, 1, v16
	v_and_or_b32 v32, v30, s1, v41
	v_pk_add_f16 v31, v43, v31 neg_lo:[0,1] neg_hi:[0,1]
	v_lshl_add_u32 v32, v32, 2, v34
	v_pk_fma_f16 v43, v43, 2.0, v31 op_sel_hi:[1,0,1] neg_lo:[0,0,1] neg_hi:[0,0,1]
	ds_write2_b32 v32, v43, v31 offset1:2
	v_pk_mul_f16 v31, v42, v37 op_sel:[0,1]
	v_pk_fma_f16 v32, v42, v37, v31 op_sel:[0,0,1] op_sel_hi:[1,1,0]
	v_pk_fma_f16 v31, v42, v37, v31 op_sel:[0,0,1] op_sel_hi:[1,0,0] neg_lo:[1,0,0] neg_hi:[1,0,0]
	v_bfi_b32 v32, s0, v32, v31
	s_movk_i32 s1, 0x7fc
	v_lshlrev_b32_e32 v31, 1, v14
	v_and_or_b32 v37, v31, s1, v41
	v_pk_add_f16 v32, v44, v32 neg_lo:[0,1] neg_hi:[0,1]
	v_lshl_add_u32 v37, v37, 2, v34
	v_pk_fma_f16 v43, v44, 2.0, v32 op_sel_hi:[1,0,1] neg_lo:[0,0,1] neg_hi:[0,0,1]
	ds_write2_b32 v37, v43, v32 offset1:2
	v_pk_mul_f16 v32, v42, v38 op_sel:[0,1]
	v_pk_fma_f16 v37, v42, v38, v32 op_sel:[0,0,1] op_sel_hi:[1,1,0]
	v_pk_fma_f16 v32, v42, v38, v32 op_sel:[0,0,1] op_sel_hi:[1,0,0] neg_lo:[1,0,0] neg_hi:[1,0,0]
	v_bfi_b32 v37, s0, v37, v32
	v_lshlrev_b32_e32 v32, 1, v12
	v_and_or_b32 v38, v32, s2, v41
	v_pk_add_f16 v37, v45, v37 neg_lo:[0,1] neg_hi:[0,1]
	v_lshl_add_u32 v38, v38, 2, v34
	v_pk_fma_f16 v43, v45, 2.0, v37 op_sel_hi:[1,0,1] neg_lo:[0,0,1] neg_hi:[0,0,1]
	ds_write2_b32 v38, v43, v37 offset1:2
	v_pk_mul_f16 v37, v39, v42 op_sel:[0,1]
	v_pk_fma_f16 v38, v39, v42, v37 op_sel:[0,0,1] op_sel_hi:[1,1,0]
	v_pk_fma_f16 v37, v39, v42, v37 op_sel:[0,0,1] op_sel_hi:[1,0,0] neg_lo:[0,0,1] neg_hi:[0,0,1]
	v_bfi_b32 v38, s0, v38, v37
	;; [unrolled: 10-line block ×4, first 2 shown]
	v_lshlrev_b32_e32 v39, 1, v6
	v_and_or_b32 v41, v39, s1, v41
	v_pk_add_f16 v40, v52, v40 neg_lo:[0,1] neg_hi:[0,1]
	v_lshl_add_u32 v41, v41, 2, v34
	v_pk_fma_f16 v42, v52, 2.0, v40 op_sel_hi:[1,0,1] neg_lo:[0,0,1] neg_hi:[0,0,1]
	v_and_b32_e32 v48, 3, v0
	ds_write2_b32 v41, v42, v40 offset1:2
	v_lshlrev_b32_e32 v40, 2, v48
	s_waitcnt lgkmcnt(0)
	s_barrier
	global_load_dword v49, v40, s[8:9] offset:8
	ds_read2_b32 v[40:41], v22 offset0:112 offset1:224
	s_movk_i32 s1, 0xf8
	s_movk_i32 s2, 0x5f8
	s_waitcnt vmcnt(0) lgkmcnt(0)
	v_pk_mul_f16 v42, v49, v40 op_sel:[0,1]
	v_pk_fma_f16 v43, v49, v40, v42 op_sel:[0,0,1] op_sel_hi:[1,1,0]
	v_pk_fma_f16 v40, v49, v40, v42 op_sel:[0,0,1] op_sel_hi:[1,0,0] neg_lo:[1,0,0] neg_hi:[1,0,0]
	v_bfi_b32 v40, s0, v43, v40
	v_and_or_b32 v42, v19, s1, v48
	v_lshl_add_u32 v50, v42, 2, v34
	ds_read_b32 v42, v33
	ds_read_b32 v51, v23
	ds_read_b32 v52, v24
	ds_read_b32 v53, v25
	ds_read_b32 v54, v26
	ds_read_b32 v55, v1 offset:7616
	ds_read_b32 v56, v36
	ds_read_b32 v57, v35
	s_waitcnt lgkmcnt(7)
	v_pk_add_f16 v40, v42, v40 neg_lo:[0,1] neg_hi:[0,1]
	v_pk_fma_f16 v58, v42, 2.0, v40 op_sel_hi:[1,0,1] neg_lo:[0,0,1] neg_hi:[0,0,1]
	ds_read_b32 v59, v27
	ds_read_b32 v60, v28
	ds_read2_b32 v[42:43], v21 offset0:80 offset1:192
	ds_read2_b32 v[44:45], v13 offset0:48 offset1:160
	;; [unrolled: 1-line block ×3, first 2 shown]
	s_waitcnt lgkmcnt(0)
	s_barrier
	ds_write2_b32 v50, v58, v40 offset1:4
	v_pk_mul_f16 v40, v49, v41 op_sel:[0,1]
	v_pk_fma_f16 v50, v49, v41, v40 op_sel:[0,0,1] op_sel_hi:[1,1,0]
	v_pk_fma_f16 v40, v49, v41, v40 op_sel:[0,0,1] op_sel_hi:[1,0,0] neg_lo:[1,0,0] neg_hi:[1,0,0]
	v_bfi_b32 v40, s0, v50, v40
	s_movk_i32 s1, 0x1f8
	v_and_or_b32 v41, v20, s1, v48
	v_pk_add_f16 v40, v57, v40 neg_lo:[0,1] neg_hi:[0,1]
	v_lshl_add_u32 v41, v41, 2, v34
	v_pk_fma_f16 v50, v57, 2.0, v40 op_sel_hi:[1,0,1] neg_lo:[0,0,1] neg_hi:[0,0,1]
	ds_write2_b32 v41, v50, v40 offset1:4
	v_pk_mul_f16 v40, v49, v42 op_sel:[0,1]
	v_pk_fma_f16 v41, v49, v42, v40 op_sel:[0,0,1] op_sel_hi:[1,1,0]
	v_pk_fma_f16 v40, v49, v42, v40 op_sel:[0,0,1] op_sel_hi:[1,0,0] neg_lo:[1,0,0] neg_hi:[1,0,0]
	v_bfi_b32 v40, s0, v41, v40
	s_movk_i32 s1, 0x3f8
	v_and_or_b32 v41, v29, s1, v48
	v_pk_add_f16 v40, v56, v40 neg_lo:[0,1] neg_hi:[0,1]
	v_lshl_add_u32 v41, v41, 2, v34
	v_pk_fma_f16 v42, v56, 2.0, v40 op_sel_hi:[1,0,1] neg_lo:[0,0,1] neg_hi:[0,0,1]
	ds_write2_b32 v41, v42, v40 offset1:4
	v_pk_mul_f16 v40, v49, v43 op_sel:[0,1]
	v_pk_fma_f16 v41, v49, v43, v40 op_sel:[0,0,1] op_sel_hi:[1,1,0]
	v_pk_fma_f16 v40, v49, v43, v40 op_sel:[0,0,1] op_sel_hi:[1,0,0] neg_lo:[1,0,0] neg_hi:[1,0,0]
	v_bfi_b32 v40, s0, v41, v40
	v_and_or_b32 v41, v30, s1, v48
	v_pk_add_f16 v40, v51, v40 neg_lo:[0,1] neg_hi:[0,1]
	v_lshl_add_u32 v41, v41, 2, v34
	v_pk_fma_f16 v42, v51, 2.0, v40 op_sel_hi:[1,0,1] neg_lo:[0,0,1] neg_hi:[0,0,1]
	ds_write2_b32 v41, v42, v40 offset1:4
	v_pk_mul_f16 v40, v49, v44 op_sel:[0,1]
	v_pk_fma_f16 v41, v49, v44, v40 op_sel:[0,0,1] op_sel_hi:[1,1,0]
	v_pk_fma_f16 v40, v49, v44, v40 op_sel:[0,0,1] op_sel_hi:[1,0,0] neg_lo:[1,0,0] neg_hi:[1,0,0]
	v_bfi_b32 v40, s0, v41, v40
	s_movk_i32 s1, 0x7f8
	v_and_or_b32 v41, v31, s1, v48
	v_pk_add_f16 v40, v52, v40 neg_lo:[0,1] neg_hi:[0,1]
	v_lshl_add_u32 v41, v41, 2, v34
	v_pk_fma_f16 v42, v52, 2.0, v40 op_sel_hi:[1,0,1] neg_lo:[0,0,1] neg_hi:[0,0,1]
	ds_write2_b32 v41, v42, v40 offset1:4
	v_pk_mul_f16 v40, v49, v45 op_sel:[0,1]
	v_pk_fma_f16 v41, v49, v45, v40 op_sel:[0,0,1] op_sel_hi:[1,1,0]
	v_pk_fma_f16 v40, v49, v45, v40 op_sel:[0,0,1] op_sel_hi:[1,0,0] neg_lo:[1,0,0] neg_hi:[1,0,0]
	v_bfi_b32 v40, s0, v41, v40
	v_and_or_b32 v41, v32, s2, v48
	v_pk_add_f16 v40, v53, v40 neg_lo:[0,1] neg_hi:[0,1]
	v_lshl_add_u32 v41, v41, 2, v34
	v_pk_fma_f16 v42, v53, 2.0, v40 op_sel_hi:[1,0,1] neg_lo:[0,0,1] neg_hi:[0,0,1]
	ds_write2_b32 v41, v42, v40 offset1:4
	v_pk_mul_f16 v40, v49, v46 op_sel:[0,1]
	v_pk_fma_f16 v41, v49, v46, v40 op_sel:[0,0,1] op_sel_hi:[1,1,0]
	v_pk_fma_f16 v40, v49, v46, v40 op_sel:[0,0,1] op_sel_hi:[1,0,0] neg_lo:[1,0,0] neg_hi:[1,0,0]
	v_bfi_b32 v40, s0, v41, v40
	;; [unrolled: 9-line block ×4, first 2 shown]
	v_and_or_b32 v41, v39, s1, v48
	v_pk_add_f16 v40, v60, v40 neg_lo:[0,1] neg_hi:[0,1]
	v_lshl_add_u32 v41, v41, 2, v34
	v_pk_fma_f16 v42, v60, 2.0, v40 op_sel_hi:[1,0,1] neg_lo:[0,0,1] neg_hi:[0,0,1]
	v_and_b32_e32 v48, 7, v0
	ds_write2_b32 v41, v42, v40 offset1:4
	v_lshlrev_b32_e32 v40, 2, v48
	s_waitcnt lgkmcnt(0)
	s_barrier
	global_load_dword v49, v40, s[8:9] offset:24
	ds_read2_b32 v[40:41], v22 offset0:112 offset1:224
	s_movk_i32 s1, 0xf0
	s_movk_i32 s2, 0x5f0
	s_waitcnt vmcnt(0) lgkmcnt(0)
	v_pk_mul_f16 v42, v49, v40 op_sel:[0,1]
	v_pk_fma_f16 v43, v49, v40, v42 op_sel:[0,0,1] op_sel_hi:[1,1,0]
	v_pk_fma_f16 v40, v49, v40, v42 op_sel:[0,0,1] op_sel_hi:[1,0,0] neg_lo:[1,0,0] neg_hi:[1,0,0]
	v_bfi_b32 v40, s0, v43, v40
	v_and_or_b32 v42, v19, s1, v48
	v_lshl_add_u32 v50, v42, 2, v34
	ds_read_b32 v42, v33
	ds_read_b32 v51, v23
	;; [unrolled: 1-line block ×5, first 2 shown]
	ds_read_b32 v55, v1 offset:7616
	ds_read_b32 v56, v36
	ds_read_b32 v57, v35
	s_waitcnt lgkmcnt(7)
	v_pk_add_f16 v40, v42, v40 neg_lo:[0,1] neg_hi:[0,1]
	v_pk_fma_f16 v58, v42, 2.0, v40 op_sel_hi:[1,0,1] neg_lo:[0,0,1] neg_hi:[0,0,1]
	ds_read_b32 v59, v27
	ds_read_b32 v60, v28
	ds_read2_b32 v[42:43], v21 offset0:80 offset1:192
	ds_read2_b32 v[44:45], v13 offset0:48 offset1:160
	;; [unrolled: 1-line block ×3, first 2 shown]
	s_waitcnt lgkmcnt(0)
	s_barrier
	ds_write2_b32 v50, v58, v40 offset1:8
	v_pk_mul_f16 v40, v49, v41 op_sel:[0,1]
	v_pk_fma_f16 v50, v49, v41, v40 op_sel:[0,0,1] op_sel_hi:[1,1,0]
	v_pk_fma_f16 v40, v49, v41, v40 op_sel:[0,0,1] op_sel_hi:[1,0,0] neg_lo:[1,0,0] neg_hi:[1,0,0]
	v_bfi_b32 v40, s0, v50, v40
	s_movk_i32 s1, 0x1f0
	v_and_or_b32 v41, v20, s1, v48
	v_pk_add_f16 v40, v57, v40 neg_lo:[0,1] neg_hi:[0,1]
	v_lshl_add_u32 v41, v41, 2, v34
	v_pk_fma_f16 v50, v57, 2.0, v40 op_sel_hi:[1,0,1] neg_lo:[0,0,1] neg_hi:[0,0,1]
	ds_write2_b32 v41, v50, v40 offset1:8
	v_pk_mul_f16 v40, v49, v42 op_sel:[0,1]
	v_pk_fma_f16 v41, v49, v42, v40 op_sel:[0,0,1] op_sel_hi:[1,1,0]
	v_pk_fma_f16 v40, v49, v42, v40 op_sel:[0,0,1] op_sel_hi:[1,0,0] neg_lo:[1,0,0] neg_hi:[1,0,0]
	v_bfi_b32 v40, s0, v41, v40
	s_movk_i32 s1, 0x3f0
	v_and_or_b32 v41, v29, s1, v48
	v_pk_add_f16 v40, v56, v40 neg_lo:[0,1] neg_hi:[0,1]
	v_lshl_add_u32 v41, v41, 2, v34
	v_pk_fma_f16 v42, v56, 2.0, v40 op_sel_hi:[1,0,1] neg_lo:[0,0,1] neg_hi:[0,0,1]
	ds_write2_b32 v41, v42, v40 offset1:8
	v_pk_mul_f16 v40, v49, v43 op_sel:[0,1]
	v_pk_fma_f16 v41, v49, v43, v40 op_sel:[0,0,1] op_sel_hi:[1,1,0]
	v_pk_fma_f16 v40, v49, v43, v40 op_sel:[0,0,1] op_sel_hi:[1,0,0] neg_lo:[1,0,0] neg_hi:[1,0,0]
	v_bfi_b32 v40, s0, v41, v40
	v_and_or_b32 v41, v30, s1, v48
	v_pk_add_f16 v40, v51, v40 neg_lo:[0,1] neg_hi:[0,1]
	v_lshl_add_u32 v41, v41, 2, v34
	v_pk_fma_f16 v42, v51, 2.0, v40 op_sel_hi:[1,0,1] neg_lo:[0,0,1] neg_hi:[0,0,1]
	ds_write2_b32 v41, v42, v40 offset1:8
	v_pk_mul_f16 v40, v49, v44 op_sel:[0,1]
	v_pk_fma_f16 v41, v49, v44, v40 op_sel:[0,0,1] op_sel_hi:[1,1,0]
	v_pk_fma_f16 v40, v49, v44, v40 op_sel:[0,0,1] op_sel_hi:[1,0,0] neg_lo:[1,0,0] neg_hi:[1,0,0]
	v_bfi_b32 v40, s0, v41, v40
	s_movk_i32 s1, 0x7f0
	v_and_or_b32 v41, v31, s1, v48
	v_pk_add_f16 v40, v52, v40 neg_lo:[0,1] neg_hi:[0,1]
	v_lshl_add_u32 v41, v41, 2, v34
	v_pk_fma_f16 v42, v52, 2.0, v40 op_sel_hi:[1,0,1] neg_lo:[0,0,1] neg_hi:[0,0,1]
	ds_write2_b32 v41, v42, v40 offset1:8
	v_pk_mul_f16 v40, v49, v45 op_sel:[0,1]
	v_pk_fma_f16 v41, v49, v45, v40 op_sel:[0,0,1] op_sel_hi:[1,1,0]
	v_pk_fma_f16 v40, v49, v45, v40 op_sel:[0,0,1] op_sel_hi:[1,0,0] neg_lo:[1,0,0] neg_hi:[1,0,0]
	v_bfi_b32 v40, s0, v41, v40
	v_and_or_b32 v41, v32, s2, v48
	v_pk_add_f16 v40, v53, v40 neg_lo:[0,1] neg_hi:[0,1]
	v_lshl_add_u32 v41, v41, 2, v34
	v_pk_fma_f16 v42, v53, 2.0, v40 op_sel_hi:[1,0,1] neg_lo:[0,0,1] neg_hi:[0,0,1]
	ds_write2_b32 v41, v42, v40 offset1:8
	v_pk_mul_f16 v40, v49, v46 op_sel:[0,1]
	v_pk_fma_f16 v41, v49, v46, v40 op_sel:[0,0,1] op_sel_hi:[1,1,0]
	v_pk_fma_f16 v40, v49, v46, v40 op_sel:[0,0,1] op_sel_hi:[1,0,0] neg_lo:[1,0,0] neg_hi:[1,0,0]
	v_bfi_b32 v40, s0, v41, v40
	;; [unrolled: 9-line block ×4, first 2 shown]
	v_and_or_b32 v41, v39, s1, v48
	v_pk_add_f16 v40, v60, v40 neg_lo:[0,1] neg_hi:[0,1]
	v_lshl_add_u32 v41, v41, 2, v34
	v_pk_fma_f16 v42, v60, 2.0, v40 op_sel_hi:[1,0,1] neg_lo:[0,0,1] neg_hi:[0,0,1]
	v_and_b32_e32 v48, 15, v0
	ds_write2_b32 v41, v42, v40 offset1:8
	v_lshlrev_b32_e32 v40, 2, v48
	s_waitcnt lgkmcnt(0)
	s_barrier
	global_load_dword v49, v40, s[8:9] offset:56
	ds_read2_b32 v[40:41], v22 offset0:112 offset1:224
	s_movk_i32 s1, 0xe0
	v_and_or_b32 v19, v19, s1, v48
	v_lshl_add_u32 v19, v19, 2, v34
	s_movk_i32 s1, 0x1e0
	v_and_or_b32 v20, v20, s1, v48
	v_lshl_add_u32 v20, v20, 2, v34
	s_movk_i32 s1, 0x3e0
	s_movk_i32 s2, 0x5e0
	s_waitcnt vmcnt(0) lgkmcnt(0)
	v_pk_mul_f16 v42, v49, v40 op_sel:[0,1]
	v_pk_fma_f16 v43, v49, v40, v42 op_sel:[0,0,1] op_sel_hi:[1,1,0]
	v_pk_fma_f16 v40, v49, v40, v42 op_sel:[0,0,1] op_sel_hi:[1,0,0] neg_lo:[1,0,0] neg_hi:[1,0,0]
	ds_read_b32 v42, v33
	v_bfi_b32 v40, s0, v43, v40
	ds_read_b32 v50, v23
	ds_read_b32 v51, v24
	;; [unrolled: 1-line block ×4, first 2 shown]
	ds_read_b32 v54, v1 offset:7616
	ds_read_b32 v55, v36
	ds_read_b32 v56, v35
	s_waitcnt lgkmcnt(7)
	v_pk_add_f16 v40, v42, v40 neg_lo:[0,1] neg_hi:[0,1]
	v_pk_fma_f16 v57, v42, 2.0, v40 op_sel_hi:[1,0,1] neg_lo:[0,0,1] neg_hi:[0,0,1]
	ds_read_b32 v58, v27
	ds_read_b32 v59, v28
	ds_read2_b32 v[42:43], v21 offset0:80 offset1:192
	ds_read2_b32 v[44:45], v13 offset0:48 offset1:160
	ds_read2_b32 v[46:47], v9 offset0:16 offset1:128
	s_waitcnt lgkmcnt(0)
	s_barrier
	ds_write2_b32 v19, v57, v40 offset1:16
	v_pk_mul_f16 v19, v49, v41 op_sel:[0,1]
	v_pk_fma_f16 v40, v49, v41, v19 op_sel:[0,0,1] op_sel_hi:[1,1,0]
	v_pk_fma_f16 v19, v49, v41, v19 op_sel:[0,0,1] op_sel_hi:[1,0,0] neg_lo:[1,0,0] neg_hi:[1,0,0]
	v_bfi_b32 v19, s0, v40, v19
	v_pk_add_f16 v19, v56, v19 neg_lo:[0,1] neg_hi:[0,1]
	v_pk_fma_f16 v40, v56, 2.0, v19 op_sel_hi:[1,0,1] neg_lo:[0,0,1] neg_hi:[0,0,1]
	ds_write2_b32 v20, v40, v19 offset1:16
	v_pk_mul_f16 v19, v49, v42 op_sel:[0,1]
	v_pk_fma_f16 v20, v49, v42, v19 op_sel:[0,0,1] op_sel_hi:[1,1,0]
	v_pk_fma_f16 v19, v49, v42, v19 op_sel:[0,0,1] op_sel_hi:[1,0,0] neg_lo:[1,0,0] neg_hi:[1,0,0]
	v_bfi_b32 v19, s0, v20, v19
	v_and_or_b32 v20, v29, s1, v48
	v_pk_add_f16 v19, v55, v19 neg_lo:[0,1] neg_hi:[0,1]
	v_lshl_add_u32 v20, v20, 2, v34
	v_pk_fma_f16 v29, v55, 2.0, v19 op_sel_hi:[1,0,1] neg_lo:[0,0,1] neg_hi:[0,0,1]
	ds_write2_b32 v20, v29, v19 offset1:16
	v_pk_mul_f16 v19, v49, v43 op_sel:[0,1]
	v_pk_fma_f16 v20, v49, v43, v19 op_sel:[0,0,1] op_sel_hi:[1,1,0]
	v_pk_fma_f16 v19, v49, v43, v19 op_sel:[0,0,1] op_sel_hi:[1,0,0] neg_lo:[1,0,0] neg_hi:[1,0,0]
	v_bfi_b32 v19, s0, v20, v19
	v_and_or_b32 v20, v30, s1, v48
	v_pk_add_f16 v19, v50, v19 neg_lo:[0,1] neg_hi:[0,1]
	v_lshl_add_u32 v20, v20, 2, v34
	v_pk_fma_f16 v29, v50, 2.0, v19 op_sel_hi:[1,0,1] neg_lo:[0,0,1] neg_hi:[0,0,1]
	ds_write2_b32 v20, v29, v19 offset1:16
	v_pk_mul_f16 v19, v49, v44 op_sel:[0,1]
	v_pk_fma_f16 v20, v49, v44, v19 op_sel:[0,0,1] op_sel_hi:[1,1,0]
	v_pk_fma_f16 v19, v49, v44, v19 op_sel:[0,0,1] op_sel_hi:[1,0,0] neg_lo:[1,0,0] neg_hi:[1,0,0]
	v_bfi_b32 v19, s0, v20, v19
	s_movk_i32 s1, 0x7e0
	v_and_or_b32 v20, v31, s1, v48
	v_pk_add_f16 v19, v51, v19 neg_lo:[0,1] neg_hi:[0,1]
	v_lshl_add_u32 v20, v20, 2, v34
	v_pk_fma_f16 v29, v51, 2.0, v19 op_sel_hi:[1,0,1] neg_lo:[0,0,1] neg_hi:[0,0,1]
	ds_write2_b32 v20, v29, v19 offset1:16
	v_pk_mul_f16 v19, v49, v45 op_sel:[0,1]
	v_pk_fma_f16 v20, v49, v45, v19 op_sel:[0,0,1] op_sel_hi:[1,1,0]
	v_pk_fma_f16 v19, v49, v45, v19 op_sel:[0,0,1] op_sel_hi:[1,0,0] neg_lo:[1,0,0] neg_hi:[1,0,0]
	v_bfi_b32 v19, s0, v20, v19
	v_and_or_b32 v20, v32, s2, v48
	v_pk_add_f16 v19, v52, v19 neg_lo:[0,1] neg_hi:[0,1]
	v_lshl_add_u32 v20, v20, 2, v34
	v_pk_fma_f16 v29, v52, 2.0, v19 op_sel_hi:[1,0,1] neg_lo:[0,0,1] neg_hi:[0,0,1]
	ds_write2_b32 v20, v29, v19 offset1:16
	v_pk_mul_f16 v19, v49, v46 op_sel:[0,1]
	v_pk_fma_f16 v20, v49, v46, v19 op_sel:[0,0,1] op_sel_hi:[1,1,0]
	v_pk_fma_f16 v19, v49, v46, v19 op_sel:[0,0,1] op_sel_hi:[1,0,0] neg_lo:[1,0,0] neg_hi:[1,0,0]
	v_bfi_b32 v19, s0, v20, v19
	;; [unrolled: 9-line block ×4, first 2 shown]
	v_and_or_b32 v29, v39, s1, v48
	v_pk_add_f16 v19, v59, v19 neg_lo:[0,1] neg_hi:[0,1]
	v_lshl_add_u32 v20, v29, 2, v34
	v_pk_fma_f16 v29, v59, 2.0, v19 op_sel_hi:[1,0,1] neg_lo:[0,0,1] neg_hi:[0,0,1]
	v_and_b32_e32 v43, 31, v4
	ds_write2_b32 v20, v29, v19 offset1:16
	v_lshlrev_b32_e32 v19, 3, v43
	s_waitcnt lgkmcnt(0)
	s_barrier
	global_load_dwordx2 v[19:20], v19, s[8:9] offset:120
	v_and_b32_e32 v44, 31, v16
	v_lshlrev_b32_e32 v29, 3, v44
	global_load_dwordx2 v[29:30], v29, s[8:9] offset:120
	v_and_b32_e32 v46, 31, v12
	v_and_b32_e32 v45, 31, v0
	v_lshlrev_b32_e32 v40, 3, v46
	v_lshlrev_b32_e32 v39, 3, v45
	global_load_dwordx2 v[31:32], v40, s[8:9] offset:120
	global_load_dwordx2 v[37:38], v39, s[8:9] offset:120
	ds_read_b32 v41, v27
	ds_read_u16 v47, v28 offset:2
	ds_read_b32 v48, v28
	ds_read2_b32 v[39:40], v13 offset0:48 offset1:160
	ds_read_b32 v54, v26
	ds_read_b32 v55, v25
	s_waitcnt lgkmcnt(5)
	v_lshrrev_b32_e32 v42, 16, v41
	s_mov_b32 s2, 0xbaee
	s_movk_i32 s0, 0x60
	s_movk_i32 s1, 0xab
	s_waitcnt vmcnt(3)
	v_mul_f16_sdwa v49, v19, v42 dst_sel:DWORD dst_unused:UNUSED_PAD src0_sel:WORD_1 src1_sel:DWORD
	v_fma_f16 v49, v19, v41, v49
	v_mul_f16_sdwa v41, v19, v41 dst_sel:DWORD dst_unused:UNUSED_PAD src0_sel:WORD_1 src1_sel:DWORD
	v_fma_f16 v50, v19, v42, -v41
	s_waitcnt lgkmcnt(2)
	v_lshrrev_b32_e32 v19, 16, v39
	ds_read2_b32 v[41:42], v22 offset0:112 offset1:224
	v_mul_f16_sdwa v51, v20, v39 dst_sel:DWORD dst_unused:UNUSED_PAD src0_sel:WORD_1 src1_sel:DWORD
	v_fma_f16 v51, v20, v19, -v51
	v_mul_f16_sdwa v19, v20, v19 dst_sel:DWORD dst_unused:UNUSED_PAD src0_sel:WORD_1 src1_sel:DWORD
	v_fma_f16 v39, v20, v39, v19
	ds_read2_b32 v[19:20], v9 offset0:16 offset1:128
	s_waitcnt lgkmcnt(1)
	v_lshrrev_b32_e32 v52, 16, v41
	s_waitcnt vmcnt(2)
	v_mul_f16_sdwa v53, v41, v29 dst_sel:DWORD dst_unused:UNUSED_PAD src0_sel:DWORD src1_sel:WORD_1
	v_fma_f16 v53, v52, v29, -v53
	v_mul_f16_sdwa v52, v52, v29 dst_sel:DWORD dst_unused:UNUSED_PAD src0_sel:DWORD src1_sel:WORD_1
	v_fma_f16 v41, v41, v29, v52
	s_waitcnt lgkmcnt(0)
	v_lshrrev_b32_e32 v29, 16, v19
	v_mul_f16_sdwa v52, v19, v30 dst_sel:DWORD dst_unused:UNUSED_PAD src0_sel:DWORD src1_sel:WORD_1
	v_fma_f16 v52, v29, v30, -v52
	v_mul_f16_sdwa v29, v29, v30 dst_sel:DWORD dst_unused:UNUSED_PAD src0_sel:DWORD src1_sel:WORD_1
	v_fma_f16 v19, v19, v30, v29
	v_lshrrev_b32_e32 v29, 16, v54
	s_waitcnt vmcnt(0)
	v_mul_f16_sdwa v30, v37, v29 dst_sel:DWORD dst_unused:UNUSED_PAD src0_sel:WORD_1 src1_sel:DWORD
	v_fma_f16 v56, v37, v54, v30
	v_mul_f16_sdwa v30, v37, v54 dst_sel:DWORD dst_unused:UNUSED_PAD src0_sel:WORD_1 src1_sel:DWORD
	v_fma_f16 v54, v37, v29, -v30
	v_mul_f16_sdwa v29, v47, v37 dst_sel:DWORD dst_unused:UNUSED_PAD src0_sel:DWORD src1_sel:WORD_1
	v_fma_f16 v57, v37, v48, v29
	v_mul_f16_sdwa v29, v37, v48 dst_sel:DWORD dst_unused:UNUSED_PAD src0_sel:WORD_1 src1_sel:DWORD
	v_fma_f16 v47, v47, v37, -v29
	v_lshrrev_b32_e32 v29, 16, v40
	v_mul_f16_sdwa v30, v29, v38 dst_sel:DWORD dst_unused:UNUSED_PAD src0_sel:DWORD src1_sel:WORD_1
	v_fma_f16 v48, v40, v38, v30
	v_mul_f16_sdwa v30, v40, v38 dst_sel:DWORD dst_unused:UNUSED_PAD src0_sel:DWORD src1_sel:WORD_1
	v_fma_f16 v40, v29, v38, -v30
	v_lshrrev_b32_e32 v29, 16, v42
	v_mul_f16_sdwa v30, v29, v37 dst_sel:DWORD dst_unused:UNUSED_PAD src0_sel:DWORD src1_sel:WORD_1
	v_fma_f16 v58, v42, v37, v30
	v_mul_f16_sdwa v30, v42, v37 dst_sel:DWORD dst_unused:UNUSED_PAD src0_sel:DWORD src1_sel:WORD_1
	v_fma_f16 v37, v29, v37, -v30
	ds_read2_b32 v[29:30], v21 offset0:80 offset1:192
	v_lshrrev_b32_e32 v42, 16, v20
	v_mul_f16_sdwa v59, v42, v38 dst_sel:DWORD dst_unused:UNUSED_PAD src0_sel:DWORD src1_sel:WORD_1
	v_fma_f16 v59, v20, v38, v59
	v_mul_f16_sdwa v20, v20, v38 dst_sel:DWORD dst_unused:UNUSED_PAD src0_sel:DWORD src1_sel:WORD_1
	v_fma_f16 v20, v42, v38, -v20
	s_waitcnt lgkmcnt(0)
	v_lshrrev_b32_e32 v42, 16, v30
	v_mul_f16_sdwa v60, v38, v30 dst_sel:DWORD dst_unused:UNUSED_PAD src0_sel:WORD_1 src1_sel:DWORD
	v_fma_f16 v60, v38, v42, -v60
	v_mul_f16_sdwa v42, v38, v42 dst_sel:DWORD dst_unused:UNUSED_PAD src0_sel:WORD_1 src1_sel:DWORD
	v_fma_f16 v30, v38, v30, v42
	v_lshrrev_b32_e32 v38, 16, v29
	v_mul_f16_sdwa v42, v38, v31 dst_sel:DWORD dst_unused:UNUSED_PAD src0_sel:DWORD src1_sel:WORD_1
	v_fma_f16 v42, v29, v31, v42
	v_mul_f16_sdwa v29, v29, v31 dst_sel:DWORD dst_unused:UNUSED_PAD src0_sel:DWORD src1_sel:WORD_1
	v_fma_f16 v29, v38, v31, -v29
	ds_read_b32 v31, v1 offset:7616
	ds_read_b32 v38, v23
	ds_read_b32 v61, v24
	;; [unrolled: 1-line block ×5, first 2 shown]
	s_waitcnt lgkmcnt(5)
	v_lshrrev_b32_e32 v65, 16, v31
	v_mul_f16_sdwa v66, v65, v32 dst_sel:DWORD dst_unused:UNUSED_PAD src0_sel:DWORD src1_sel:WORD_1
	v_fma_f16 v66, v31, v32, v66
	v_mul_f16_sdwa v31, v31, v32 dst_sel:DWORD dst_unused:UNUSED_PAD src0_sel:DWORD src1_sel:WORD_1
	v_fma_f16 v31, v65, v32, -v31
	s_waitcnt lgkmcnt(0)
	v_lshrrev_b32_e32 v32, 16, v64
	v_add_f16_e32 v65, v32, v54
	v_sub_f16_e32 v67, v54, v60
	v_add_f16_e32 v54, v54, v60
	v_add_f16_e32 v65, v65, v60
	v_fma_f16 v32, v54, -0.5, v32
	v_add_f16_e32 v54, v56, v30
	v_add_f16_e32 v60, v64, v56
	v_fma_f16 v54, v54, -0.5, v64
	v_add_f16_e32 v60, v60, v30
	v_sub_f16_e32 v30, v56, v30
	v_pack_b32_f16 v56, v60, v65
	v_fma_f16 v60, v67, s2, v54
	v_fma_f16 v64, v30, s3, v32
	v_pack_b32_f16 v60, v60, v64
	v_lshrrev_b32_e32 v64, 5, v0
	v_mul_u32_u24_e32 v64, 0x60, v64
	v_or_b32_e32 v64, v64, v45
	v_fma_f16 v54, v67, s3, v54
	v_fma_f16 v30, v30, s2, v32
	v_lshl_add_u32 v64, v64, 2, v34
	v_pack_b32_f16 v30, v54, v30
	s_barrier
	ds_write_b32 v64, v30 offset:256
	v_lshrrev_b32_e32 v30, 16, v63
	v_add_f16_e32 v32, v30, v50
	v_add_f16_e32 v32, v32, v51
	v_sub_f16_e32 v54, v50, v51
	v_add_f16_e32 v50, v50, v51
	v_lshrrev_b32_e32 v51, 5, v4
	v_mul_lo_u32 v51, v51, s0
	ds_write2_b32 v64, v56, v60 offset1:32
	v_fma_f16 v30, v50, -0.5, v30
	v_add_f16_e32 v50, v49, v39
	v_add_f16_e32 v56, v63, v49
	v_fma_f16 v50, v50, -0.5, v63
	v_add_f16_e32 v56, v56, v39
	v_sub_f16_e32 v39, v49, v39
	v_or_b32_e32 v43, v51, v43
	v_fma_f16 v49, v54, s2, v50
	v_fma_f16 v51, v39, s3, v30
	v_pack_b32_f16 v32, v56, v32
	v_pack_b32_f16 v49, v49, v51
	v_lshl_add_u32 v43, v43, 2, v34
	ds_write2_b32 v43, v32, v49 offset1:32
	v_fma_f16 v32, v54, s3, v50
	v_fma_f16 v30, v39, s2, v30
	v_pack_b32_f16 v30, v32, v30
	ds_write_b32 v43, v30 offset:256
	v_lshrrev_b32_e32 v30, 16, v62
	v_add_f16_e32 v32, v30, v47
	v_add_f16_e32 v43, v62, v57
	;; [unrolled: 1-line block ×4, first 2 shown]
	v_pack_b32_f16 v32, v43, v32
	v_lshrrev_b32_e32 v43, 5, v18
	v_mul_lo_u32 v43, v43, s0
	v_sub_f16_e32 v39, v47, v40
	v_add_f16_e32 v40, v47, v40
	v_fma_f16 v30, v40, -0.5, v30
	v_add_f16_e32 v40, v57, v48
	v_fma_f16 v40, v40, -0.5, v62
	v_sub_f16_e32 v47, v57, v48
	v_fma_f16 v48, v39, s2, v40
	v_fma_f16 v49, v47, s3, v30
	v_or_b32_e32 v43, v43, v45
	v_pack_b32_f16 v48, v48, v49
	v_lshl_add_u32 v43, v43, 2, v34
	ds_write2_b32 v43, v32, v48 offset1:32
	v_fma_f16 v32, v39, s3, v40
	v_fma_f16 v30, v47, s2, v30
	v_pack_b32_f16 v30, v32, v30
	ds_write_b32 v43, v30 offset:256
	v_lshrrev_b32_e32 v43, 5, v16
	v_lshrrev_b32_e32 v30, 16, v38
	v_add_f16_e32 v40, v53, v52
	v_mul_lo_u32 v43, v43, s0
	v_add_f16_e32 v32, v30, v53
	v_fma_f16 v30, v40, -0.5, v30
	v_add_f16_e32 v40, v41, v19
	v_fma_f16 v40, v40, -0.5, v38
	v_add_f16_e32 v38, v38, v41
	v_add_f16_e32 v32, v32, v52
	v_sub_f16_e32 v39, v53, v52
	v_add_f16_e32 v38, v38, v19
	v_sub_f16_e32 v19, v41, v19
	v_or_b32_e32 v41, v43, v44
	v_pack_b32_f16 v32, v38, v32
	v_fma_f16 v38, v39, s2, v40
	v_fma_f16 v43, v19, s3, v30
	v_pack_b32_f16 v38, v38, v43
	v_lshl_add_u32 v41, v41, 2, v34
	ds_write2_b32 v41, v32, v38 offset1:32
	v_fma_f16 v32, v39, s3, v40
	v_fma_f16 v19, v19, s2, v30
	v_pack_b32_f16 v19, v32, v19
	ds_write_b32 v41, v19 offset:256
	v_lshrrev_b32_e32 v19, 16, v61
	v_add_f16_e32 v30, v19, v37
	v_add_f16_e32 v30, v30, v20
	v_sub_f16_e32 v32, v37, v20
	v_add_f16_e32 v20, v37, v20
	v_lshrrev_b32_e32 v37, 5, v14
	v_mul_lo_u32 v37, v37, s0
	v_fma_f16 v19, v20, -0.5, v19
	v_add_f16_e32 v20, v58, v59
	v_add_f16_e32 v38, v61, v58
	v_fma_f16 v20, v20, -0.5, v61
	v_add_f16_e32 v38, v38, v59
	v_sub_f16_e32 v39, v58, v59
	v_or_b32_e32 v37, v37, v45
	v_pack_b32_f16 v30, v38, v30
	v_fma_f16 v38, v32, s2, v20
	v_fma_f16 v40, v39, s3, v19
	;; [unrolled: 1-line block ×4, first 2 shown]
	v_lshl_add_u32 v37, v37, 2, v34
	v_pack_b32_f16 v19, v20, v19
	ds_write_b32 v37, v19 offset:256
	v_lshrrev_b32_e32 v19, 16, v55
	v_pack_b32_f16 v38, v38, v40
	v_add_f16_e32 v20, v19, v29
	ds_write2_b32 v37, v30, v38 offset1:32
	v_add_f16_e32 v20, v20, v31
	v_sub_f16_e32 v30, v29, v31
	v_add_f16_e32 v29, v29, v31
	v_lshrrev_b32_e32 v31, 5, v12
	v_mul_lo_u32 v31, v31, s0
	v_fma_f16 v19, v29, -0.5, v19
	v_add_f16_e32 v29, v42, v66
	v_add_f16_e32 v32, v55, v42
	v_fma_f16 v29, v29, -0.5, v55
	v_add_f16_e32 v32, v32, v66
	v_sub_f16_e32 v37, v42, v66
	v_or_b32_e32 v31, v31, v46
	v_pack_b32_f16 v20, v32, v20
	v_fma_f16 v32, v30, s2, v29
	v_fma_f16 v38, v37, s3, v19
	v_pack_b32_f16 v32, v32, v38
	v_lshl_add_u32 v31, v31, 2, v34
	ds_write2_b32 v31, v20, v32 offset1:32
	v_fma_f16 v20, v30, s3, v29
	v_fma_f16 v19, v37, s2, v19
	v_pack_b32_f16 v19, v20, v19
	ds_write_b32 v31, v19 offset:256
	v_mul_lo_u16_sdwa v19, v4, s1 dst_sel:DWORD dst_unused:UNUSED_PAD src0_sel:BYTE_0 src1_sel:DWORD
	v_lshrrev_b16_e32 v45, 14, v19
	v_mul_lo_u16_e32 v19, 0x60, v45
	v_sub_u16_e32 v46, v4, v19
	v_mov_b32_e32 v19, 3
	v_lshlrev_b32_sdwa v19, v19, v46 dst_sel:DWORD dst_unused:UNUSED_PAD src0_sel:DWORD src1_sel:BYTE_0
	s_waitcnt lgkmcnt(0)
	s_barrier
	global_load_dwordx2 v[29:30], v19, s[8:9] offset:376
	v_mul_u32_u24_sdwa v19, v18, s4 dst_sel:DWORD dst_unused:UNUSED_PAD src0_sel:WORD_0 src1_sel:DWORD
	v_lshrrev_b32_e32 v47, 22, v19
	v_mul_lo_u16_e32 v19, 0x60, v47
	v_sub_u16_e32 v48, v18, v19
	v_lshlrev_b32_e32 v19, 3, v48
	global_load_dwordx2 v[31:32], v19, s[8:9] offset:376
	v_mul_u32_u24_sdwa v19, v16, s4 dst_sel:DWORD dst_unused:UNUSED_PAD src0_sel:WORD_0 src1_sel:DWORD
	v_lshrrev_b32_e32 v49, 22, v19
	v_mul_lo_u16_e32 v19, 0x60, v49
	v_sub_u16_e32 v50, v16, v19
	v_lshlrev_b32_e32 v19, 3, v50
	;; [unrolled: 6-line block ×3, first 2 shown]
	global_load_dwordx2 v[39:40], v19, s[8:9] offset:376
	v_add_u32_e32 v19, 0xffffffa0, v0
	v_cmp_gt_u32_e64 s[0:1], s0, v0
	v_cndmask_b32_e64 v53, v19, v0, s[0:1]
	v_lshlrev_b32_e32 v19, 1, v53
	v_mov_b32_e32 v20, 0
	v_lshlrev_b64 v[41:42], 2, v[19:20]
	v_mov_b32_e32 v43, s9
	v_add_co_u32_e64 v41, s[0:1], s8, v41
	v_addc_co_u32_e64 v42, s[0:1], v43, v42, s[0:1]
	global_load_dwordx2 v[41:42], v[41:42], off offset:376
	v_mul_u32_u24_sdwa v19, v12, s4 dst_sel:DWORD dst_unused:UNUSED_PAD src0_sel:WORD_0 src1_sel:DWORD
	v_lshrrev_b32_e32 v19, 22, v19
	v_mul_lo_u16_e32 v43, 0x60, v19
	v_sub_u16_e32 v54, v12, v43
	v_lshlrev_b32_e32 v43, 3, v54
	global_load_dwordx2 v[43:44], v43, s[8:9] offset:376
	ds_read_b32 v55, v27
	ds_read_b32 v56, v28
	ds_read2_b32 v[27:28], v13 offset0:48 offset1:160
	ds_read_b32 v26, v26
	ds_read_b32 v25, v25
	s_waitcnt lgkmcnt(4)
	v_lshrrev_b32_e32 v57, 16, v55
	s_movk_i32 s0, 0x5f
	v_cmp_lt_u32_e64 s[0:1], s0, v0
	v_lshlrev_b32_e32 v53, 2, v53
	s_waitcnt vmcnt(5)
	v_mul_f16_sdwa v58, v29, v57 dst_sel:DWORD dst_unused:UNUSED_PAD src0_sel:WORD_1 src1_sel:DWORD
	v_fma_f16 v58, v29, v55, v58
	v_mul_f16_sdwa v55, v29, v55 dst_sel:DWORD dst_unused:UNUSED_PAD src0_sel:WORD_1 src1_sel:DWORD
	v_fma_f16 v55, v29, v57, -v55
	s_waitcnt lgkmcnt(2)
	v_lshrrev_b32_e32 v29, 16, v27
	v_mul_f16_sdwa v57, v30, v27 dst_sel:DWORD dst_unused:UNUSED_PAD src0_sel:WORD_1 src1_sel:DWORD
	v_fma_f16 v57, v30, v29, -v57
	v_mul_f16_sdwa v29, v30, v29 dst_sel:DWORD dst_unused:UNUSED_PAD src0_sel:WORD_1 src1_sel:DWORD
	v_fma_f16 v59, v30, v27, v29
	v_lshrrev_b32_e32 v27, 16, v56
	s_waitcnt vmcnt(4)
	v_mul_f16_sdwa v29, v27, v31 dst_sel:DWORD dst_unused:UNUSED_PAD src0_sel:DWORD src1_sel:WORD_1
	v_fma_f16 v60, v56, v31, v29
	v_mul_f16_sdwa v29, v56, v31 dst_sel:DWORD dst_unused:UNUSED_PAD src0_sel:DWORD src1_sel:WORD_1
	v_fma_f16 v31, v27, v31, -v29
	v_lshrrev_b32_e32 v27, 16, v28
	ds_read2_b32 v[29:30], v22 offset0:112 offset1:224
	v_mul_f16_sdwa v22, v27, v32 dst_sel:DWORD dst_unused:UNUSED_PAD src0_sel:DWORD src1_sel:WORD_1
	v_fma_f16 v56, v28, v32, v22
	v_mul_f16_sdwa v22, v28, v32 dst_sel:DWORD dst_unused:UNUSED_PAD src0_sel:DWORD src1_sel:WORD_1
	v_fma_f16 v32, v27, v32, -v22
	ds_read2_b32 v[27:28], v9 offset0:16 offset1:128
	s_waitcnt lgkmcnt(1)
	v_lshrrev_b32_e32 v22, 16, v29
	s_waitcnt vmcnt(3)
	v_mul_f16_sdwa v61, v29, v37 dst_sel:DWORD dst_unused:UNUSED_PAD src0_sel:DWORD src1_sel:WORD_1
	v_fma_f16 v61, v22, v37, -v61
	v_mul_f16_sdwa v22, v22, v37 dst_sel:DWORD dst_unused:UNUSED_PAD src0_sel:DWORD src1_sel:WORD_1
	v_fma_f16 v29, v29, v37, v22
	s_waitcnt lgkmcnt(0)
	v_lshrrev_b32_e32 v22, 16, v27
	v_mul_f16_sdwa v37, v27, v38 dst_sel:DWORD dst_unused:UNUSED_PAD src0_sel:DWORD src1_sel:WORD_1
	v_fma_f16 v37, v22, v38, -v37
	v_mul_f16_sdwa v22, v22, v38 dst_sel:DWORD dst_unused:UNUSED_PAD src0_sel:DWORD src1_sel:WORD_1
	v_fma_f16 v27, v27, v38, v22
	v_lshrrev_b32_e32 v22, 16, v30
	s_waitcnt vmcnt(2)
	v_mul_f16_sdwa v38, v22, v39 dst_sel:DWORD dst_unused:UNUSED_PAD src0_sel:DWORD src1_sel:WORD_1
	v_fma_f16 v38, v30, v39, v38
	v_mul_f16_sdwa v30, v30, v39 dst_sel:DWORD dst_unused:UNUSED_PAD src0_sel:DWORD src1_sel:WORD_1
	v_fma_f16 v30, v22, v39, -v30
	v_lshrrev_b32_e32 v22, 16, v28
	v_mul_f16_sdwa v39, v22, v40 dst_sel:DWORD dst_unused:UNUSED_PAD src0_sel:DWORD src1_sel:WORD_1
	v_fma_f16 v39, v28, v40, v39
	v_mul_f16_sdwa v28, v28, v40 dst_sel:DWORD dst_unused:UNUSED_PAD src0_sel:DWORD src1_sel:WORD_1
	v_fma_f16 v28, v22, v40, -v28
	ds_read2_b32 v[21:22], v21 offset0:80 offset1:192
	v_lshrrev_b32_e32 v40, 16, v26
	s_waitcnt vmcnt(1)
	v_mul_f16_sdwa v62, v41, v40 dst_sel:DWORD dst_unused:UNUSED_PAD src0_sel:WORD_1 src1_sel:DWORD
	v_fma_f16 v62, v41, v26, v62
	v_mul_f16_sdwa v26, v41, v26 dst_sel:DWORD dst_unused:UNUSED_PAD src0_sel:WORD_1 src1_sel:DWORD
	v_fma_f16 v26, v41, v40, -v26
	s_waitcnt lgkmcnt(0)
	v_lshrrev_b32_e32 v40, 16, v22
	v_mul_f16_sdwa v41, v42, v22 dst_sel:DWORD dst_unused:UNUSED_PAD src0_sel:WORD_1 src1_sel:DWORD
	v_fma_f16 v41, v42, v40, -v41
	v_mul_f16_sdwa v40, v42, v40 dst_sel:DWORD dst_unused:UNUSED_PAD src0_sel:WORD_1 src1_sel:DWORD
	v_fma_f16 v22, v42, v22, v40
	v_lshrrev_b32_e32 v40, 16, v21
	s_waitcnt vmcnt(0)
	v_mul_f16_sdwa v42, v40, v43 dst_sel:DWORD dst_unused:UNUSED_PAD src0_sel:DWORD src1_sel:WORD_1
	v_fma_f16 v42, v21, v43, v42
	v_mul_f16_sdwa v21, v21, v43 dst_sel:DWORD dst_unused:UNUSED_PAD src0_sel:DWORD src1_sel:WORD_1
	v_fma_f16 v21, v40, v43, -v21
	ds_read_b32 v40, v1 offset:7616
	ds_read_b32 v24, v24
	ds_read_b32 v23, v23
	;; [unrolled: 1-line block ×5, first 2 shown]
	s_waitcnt lgkmcnt(5)
	v_lshrrev_b32_e32 v65, 16, v40
	v_mul_f16_sdwa v66, v65, v44 dst_sel:DWORD dst_unused:UNUSED_PAD src0_sel:DWORD src1_sel:WORD_1
	v_fma_f16 v66, v40, v44, v66
	v_mul_f16_sdwa v40, v40, v44 dst_sel:DWORD dst_unused:UNUSED_PAD src0_sel:DWORD src1_sel:WORD_1
	v_fma_f16 v44, v65, v44, -v40
	s_waitcnt lgkmcnt(0)
	v_lshrrev_b32_e32 v40, 16, v64
	v_add_f16_e32 v65, v40, v26
	v_add_f16_e32 v65, v65, v41
	v_sub_f16_e32 v67, v26, v41
	v_add_f16_e32 v26, v26, v41
	v_add_f16_e32 v41, v64, v62
	v_fma_f16 v26, v26, -0.5, v40
	v_add_f16_e32 v40, v62, v22
	v_add_f16_e32 v41, v41, v22
	v_sub_f16_e32 v22, v62, v22
	v_mov_b32_e32 v62, 0x480
	v_cndmask_b32_e64 v62, 0, v62, s[0:1]
	v_fma_f16 v40, v40, -0.5, v64
	v_add_u32_e32 v62, 0, v62
	v_add3_u32 v53, v62, v53, v7
	v_fma_f16 v62, v67, s2, v40
	v_fma_f16 v64, v22, s3, v26
	;; [unrolled: 1-line block ×4, first 2 shown]
	v_pack_b32_f16 v22, v40, v22
	v_pack_b32_f16 v41, v41, v65
	;; [unrolled: 1-line block ×3, first 2 shown]
	s_barrier
	ds_write_b32 v53, v22 offset:768
	v_lshrrev_b32_e32 v22, 16, v63
	ds_write2_b32 v53, v41, v62 offset1:96
	v_add_f16_e32 v26, v22, v55
	v_add_f16_e32 v41, v55, v57
	;; [unrolled: 1-line block ×3, first 2 shown]
	v_sub_f16_e32 v40, v55, v57
	v_fma_f16 v22, v41, -0.5, v22
	v_add_f16_e32 v41, v58, v59
	v_add_f16_e32 v53, v63, v58
	v_mov_b32_e32 v57, 2
	s_movk_i32 s0, 0x480
	v_fma_f16 v41, v41, -0.5, v63
	v_add_f16_e32 v53, v53, v59
	v_sub_f16_e32 v55, v58, v59
	v_lshlrev_b32_sdwa v46, v57, v46 dst_sel:DWORD dst_unused:UNUSED_PAD src0_sel:DWORD src1_sel:BYTE_0
	v_mad_u32_u24 v45, v45, s0, 0
	v_add3_u32 v45, v45, v46, v7
	v_pack_b32_f16 v26, v53, v26
	v_fma_f16 v46, v40, s2, v41
	v_fma_f16 v53, v55, s3, v22
	v_pack_b32_f16 v46, v46, v53
	ds_write2_b32 v45, v26, v46 offset1:96
	v_fma_f16 v26, v40, s3, v41
	v_fma_f16 v22, v55, s2, v22
	v_pack_b32_f16 v22, v26, v22
	ds_write_b32 v45, v22 offset:768
	v_lshrrev_b32_e32 v22, 16, v43
	v_add_f16_e32 v26, v22, v31
	v_sub_f16_e32 v40, v31, v32
	v_add_f16_e32 v31, v31, v32
	v_add_f16_e32 v26, v26, v32
	v_fma_f16 v22, v31, -0.5, v22
	v_add_f16_e32 v31, v60, v56
	v_add_f16_e32 v32, v43, v60
	v_fma_f16 v31, v31, -0.5, v43
	v_add_f16_e32 v32, v32, v56
	v_sub_f16_e32 v41, v60, v56
	v_mad_u32_u24 v43, v47, s0, 0
	v_lshlrev_b32_e32 v45, 2, v48
	v_add3_u32 v43, v43, v45, v7
	v_pack_b32_f16 v26, v32, v26
	v_fma_f16 v32, v40, s2, v31
	v_fma_f16 v45, v41, s3, v22
	v_pack_b32_f16 v32, v32, v45
	ds_write2_b32 v43, v26, v32 offset1:96
	v_fma_f16 v26, v40, s3, v31
	v_fma_f16 v22, v41, s2, v22
	v_pack_b32_f16 v22, v26, v22
	ds_write_b32 v43, v22 offset:768
	v_lshrrev_b32_e32 v22, 16, v23
	v_add_f16_e32 v32, v61, v37
	v_add_f16_e32 v26, v22, v61
	v_fma_f16 v22, v32, -0.5, v22
	v_add_f16_e32 v32, v29, v27
	v_fma_f16 v32, v32, -0.5, v23
	v_add_f16_e32 v23, v23, v29
	v_add_f16_e32 v26, v26, v37
	v_sub_f16_e32 v31, v61, v37
	v_add_f16_e32 v23, v23, v27
	v_sub_f16_e32 v27, v29, v27
	v_mad_u32_u24 v29, v49, s0, 0
	v_lshlrev_b32_e32 v37, 2, v50
	v_add3_u32 v29, v29, v37, v7
	v_pack_b32_f16 v23, v23, v26
	v_fma_f16 v26, v31, s2, v32
	v_fma_f16 v37, v27, s3, v22
	v_pack_b32_f16 v26, v26, v37
	ds_write2_b32 v29, v23, v26 offset1:96
	v_fma_f16 v23, v31, s3, v32
	v_fma_f16 v22, v27, s2, v22
	v_pack_b32_f16 v22, v23, v22
	ds_write_b32 v29, v22 offset:768
	v_lshrrev_b32_e32 v22, 16, v24
	v_add_f16_e32 v27, v30, v28
	v_add_f16_e32 v23, v22, v30
	v_fma_f16 v22, v27, -0.5, v22
	v_add_f16_e32 v27, v38, v39
	v_add_f16_e32 v23, v23, v28
	v_sub_f16_e32 v26, v30, v28
	v_fma_f16 v27, v27, -0.5, v24
	v_sub_f16_e32 v28, v38, v39
	v_add_f16_e32 v24, v24, v38
	v_mad_u32_u24 v29, v51, s0, 0
	v_lshlrev_b32_e32 v30, 2, v52
	v_fma_f16 v37, v26, s3, v27
	v_fma_f16 v38, v28, s2, v22
	v_add3_u32 v29, v29, v30, v7
	v_fma_f16 v30, v28, s3, v22
	v_pack_b32_f16 v22, v37, v38
	ds_write_b32 v29, v22 offset:768
	v_mad_u32_u24 v19, v19, s0, 0
	v_lshlrev_b32_e32 v22, 2, v54
	v_add3_u32 v19, v19, v22, v7
	v_lshrrev_b32_e32 v7, 16, v25
	v_add_f16_e32 v24, v24, v39
	v_add_f16_e32 v22, v7, v21
	v_pack_b32_f16 v23, v24, v23
	v_fma_f16 v24, v26, s2, v27
	v_add_f16_e32 v40, v22, v44
	v_sub_f16_e32 v22, v21, v44
	v_add_f16_e32 v21, v21, v44
	v_pack_b32_f16 v24, v24, v30
	v_fma_f16 v21, v21, -0.5, v7
	v_add_f16_e32 v7, v42, v66
	ds_write2_b32 v29, v23, v24 offset1:96
	v_fma_f16 v23, v7, -0.5, v25
	v_add_f16_e32 v7, v25, v42
	v_sub_f16_e32 v24, v42, v66
	v_add_f16_e32 v7, v7, v66
	v_fma_f16 v39, v22, s2, v23
	v_fma_f16 v42, v24, s3, v21
	;; [unrolled: 1-line block ×4, first 2 shown]
	v_pack_b32_f16 v25, v7, v40
	v_pack_b32_f16 v26, v39, v42
	;; [unrolled: 1-line block ×3, first 2 shown]
	ds_write2_b32 v19, v25, v26 offset1:96
	ds_write_b32 v19, v21 offset:768
	s_waitcnt lgkmcnt(0)
	s_barrier
	ds_read2_b32 v[31:32], v17 offset0:32 offset1:144
	ds_read2_b32 v[29:30], v15 offset0:64 offset1:176
	;; [unrolled: 1-line block ×3, first 2 shown]
	v_add_u32_e32 v11, 0x1000, v1
	ds_read2_b32 v[27:28], v11 offset0:128 offset1:240
	ds_read2_b32 v[23:24], v13 offset0:32 offset1:144
	;; [unrolled: 1-line block ×3, first 2 shown]
	ds_read_b32 v46, v33
	ds_read_b32 v45, v35
	v_cmp_gt_u32_e64 s[0:1], 64, v0
                                        ; implicit-def: $vgpr11
                                        ; implicit-def: $vgpr9
                                        ; implicit-def: $vgpr44
                                        ; implicit-def: $vgpr17
                                        ; implicit-def: $vgpr15
                                        ; implicit-def: $vgpr13
	s_and_saveexec_b64 s[2:3], s[0:1]
	s_cbranch_execz .LBB0_15
; %bb.14:
	ds_read_b32 v37, v36
	ds_read_b32 v7, v1 offset:2048
	ds_read_b32 v39, v1 offset:3200
	;; [unrolled: 1-line block ×6, first 2 shown]
	s_waitcnt lgkmcnt(6)
	v_lshrrev_b32_e32 v38, 16, v37
	s_waitcnt lgkmcnt(5)
	v_lshrrev_b32_e32 v40, 16, v7
	;; [unrolled: 2-line block ×7, first 2 shown]
.LBB0_15:
	s_or_b64 exec, exec, s[2:3]
	v_mul_u32_u24_e32 v19, 6, v0
	v_lshlrev_b32_e32 v19, 2, v19
	global_load_dwordx4 v[47:50], v19, s[8:9] offset:1144
	global_load_dwordx2 v[55:56], v19, s[8:9] offset:1160
	v_mul_i32_i24_e32 v19, 6, v4
	v_lshlrev_b64 v[19:20], 2, v[19:20]
	v_mov_b32_e32 v36, s9
	v_add_co_u32_e64 v19, s[2:3], s8, v19
	v_addc_co_u32_e64 v20, s[2:3], v36, v20, s[2:3]
	global_load_dwordx4 v[51:54], v[19:20], off offset:1144
	global_load_dwordx2 v[57:58], v[19:20], off offset:1160
	s_waitcnt lgkmcnt(2)
	v_lshrrev_b32_e32 v62, 16, v21
	v_lshrrev_b32_e32 v63, 16, v23
	;; [unrolled: 1-line block ×12, first 2 shown]
	s_movk_i32 s6, 0x2b26
	s_mov_b32 s4, 0xbb00
	s_mov_b32 s7, 0xbcab
	s_movk_i32 s5, 0x39e0
	s_mov_b32 s14, 0xb9e0
	s_mov_b32 s15, 0xb574
	s_movk_i32 s10, 0x3574
	s_mov_b32 s11, 0xb70e
	s_waitcnt vmcnt(0) lgkmcnt(0)
	s_barrier
	v_mul_f16_sdwa v68, v47, v67 dst_sel:DWORD dst_unused:UNUSED_PAD src0_sel:WORD_1 src1_sel:DWORD
	v_mul_f16_sdwa v69, v47, v31 dst_sel:DWORD dst_unused:UNUSED_PAD src0_sel:WORD_1 src1_sel:DWORD
	;; [unrolled: 1-line block ×12, first 2 shown]
	v_fma_f16 v31, v47, v31, v68
	v_fma_f16 v47, v47, v67, -v69
	v_fma_f16 v29, v48, v29, v70
	v_fma_f16 v48, v48, v66, -v71
	;; [unrolled: 2-line block ×6, first 2 shown]
	v_mul_f16_sdwa v64, v52, v60 dst_sel:DWORD dst_unused:UNUSED_PAD src0_sel:WORD_1 src1_sel:DWORD
	v_mul_f16_sdwa v65, v52, v30 dst_sel:DWORD dst_unused:UNUSED_PAD src0_sel:WORD_1 src1_sel:DWORD
	v_mul_f16_sdwa v66, v19, v53 dst_sel:DWORD dst_unused:UNUSED_PAD src0_sel:DWORD src1_sel:WORD_1
	v_mul_f16_sdwa v67, v26, v53 dst_sel:DWORD dst_unused:UNUSED_PAD src0_sel:DWORD src1_sel:WORD_1
	v_add_f16_e32 v74, v31, v21
	v_add_f16_e32 v75, v47, v56
	v_sub_f16_e32 v21, v31, v21
	v_sub_f16_e32 v31, v47, v56
	v_add_f16_e32 v47, v29, v23
	v_add_f16_e32 v56, v48, v55
	v_mul_f16_sdwa v62, v51, v61 dst_sel:DWORD dst_unused:UNUSED_PAD src0_sel:WORD_1 src1_sel:DWORD
	v_mul_f16_sdwa v63, v51, v32 dst_sel:DWORD dst_unused:UNUSED_PAD src0_sel:WORD_1 src1_sel:DWORD
	v_mul_f16_sdwa v68, v20, v54 dst_sel:DWORD dst_unused:UNUSED_PAD src0_sel:DWORD src1_sel:WORD_1
	v_mul_f16_sdwa v69, v28, v54 dst_sel:DWORD dst_unused:UNUSED_PAD src0_sel:DWORD src1_sel:WORD_1
	;; [unrolled: 1-line block ×6, first 2 shown]
	v_sub_f16_e32 v23, v29, v23
	v_sub_f16_e32 v29, v48, v55
	v_add_f16_e32 v48, v25, v27
	v_add_f16_e32 v55, v49, v50
	v_sub_f16_e32 v25, v27, v25
	v_sub_f16_e32 v27, v50, v49
	v_fma_f16 v30, v52, v30, v64
	v_fma_f16 v50, v52, v60, -v65
	v_fma_f16 v26, v26, v53, v66
	v_fma_f16 v19, v19, v53, -v67
	v_add_f16_e32 v52, v47, v74
	v_add_f16_e32 v53, v56, v75
	v_fma_f16 v32, v51, v32, v62
	v_fma_f16 v49, v51, v61, -v63
	v_fma_f16 v28, v28, v54, v68
	v_fma_f16 v20, v20, v54, -v69
	;; [unrolled: 2-line block ×4, first 2 shown]
	v_sub_f16_e32 v54, v47, v74
	v_sub_f16_e32 v57, v56, v75
	;; [unrolled: 1-line block ×6, first 2 shown]
	v_add_f16_e32 v60, v25, v23
	v_add_f16_e32 v61, v27, v29
	v_sub_f16_e32 v62, v25, v23
	v_sub_f16_e32 v63, v27, v29
	;; [unrolled: 1-line block ×4, first 2 shown]
	v_add_f16_e32 v48, v48, v52
	v_add_f16_e32 v52, v55, v53
	v_sub_f16_e32 v25, v21, v25
	v_sub_f16_e32 v27, v31, v27
	v_add_f16_e32 v21, v60, v21
	v_add_f16_e32 v31, v61, v31
	;; [unrolled: 1-line block ×3, first 2 shown]
	v_add_f16_sdwa v46, v46, v52 dst_sel:DWORD dst_unused:UNUSED_PAD src0_sel:WORD_1 src1_sel:DWORD
	v_mul_f16_e32 v55, 0x3a52, v58
	v_mul_f16_e32 v58, 0x3a52, v59
	v_mul_f16_e32 v59, 0x2b26, v47
	v_mul_f16_e32 v60, 0x2b26, v56
	v_mul_f16_e32 v61, 0x3846, v62
	v_mul_f16_e32 v62, 0x3846, v63
	v_mul_f16_e32 v63, 0xbb00, v23
	v_mul_f16_e32 v64, 0xbb00, v29
	v_fma_f16 v48, v48, s7, v53
	v_fma_f16 v52, v52, s7, v46
	;; [unrolled: 1-line block ×4, first 2 shown]
	v_fma_f16 v59, v54, s5, -v59
	v_fma_f16 v60, v57, s5, -v60
	;; [unrolled: 1-line block ×4, first 2 shown]
	v_fma_f16 v57, v25, s15, v61
	v_fma_f16 v58, v27, s15, v62
	v_fma_f16 v23, v23, s4, -v61
	v_fma_f16 v25, v25, s10, -v63
	;; [unrolled: 1-line block ×4, first 2 shown]
	v_add_f16_e32 v47, v47, v48
	v_add_f16_e32 v56, v56, v52
	;; [unrolled: 1-line block ×6, first 2 shown]
	v_fma_f16 v54, v21, s11, v57
	v_fma_f16 v23, v21, s11, v23
	;; [unrolled: 1-line block ×6, first 2 shown]
	v_sub_f16_e32 v31, v56, v54
	v_add_f16_e32 v57, v25, v48
	v_sub_f16_e32 v58, v52, v21
	v_sub_f16_e32 v25, v48, v25
	v_add_f16_e32 v21, v21, v52
	v_add_f16_e32 v48, v54, v56
	;; [unrolled: 1-line block ×4, first 2 shown]
	v_sub_f16_e32 v22, v32, v22
	v_sub_f16_e32 v32, v49, v51
	v_add_f16_e32 v49, v30, v24
	v_add_f16_e32 v51, v50, v36
	v_sub_f16_e32 v24, v30, v24
	v_sub_f16_e32 v30, v50, v36
	v_add_f16_e32 v36, v26, v28
	v_add_f16_e32 v50, v19, v20
	;; [unrolled: 4-line block ×3, first 2 shown]
	v_add_f16_e32 v27, v55, v47
	v_sub_f16_e32 v61, v59, v29
	v_add_f16_e32 v62, v23, v60
	v_add_f16_e32 v29, v29, v59
	v_sub_f16_e32 v23, v60, v23
	v_sub_f16_e32 v47, v47, v55
	;; [unrolled: 1-line block ×8, first 2 shown]
	v_add_f16_e32 v59, v26, v24
	v_add_f16_e32 v60, v19, v30
	v_sub_f16_e32 v63, v26, v24
	v_sub_f16_e32 v64, v19, v30
	v_add_f16_e32 v20, v36, v20
	v_add_f16_e32 v28, v50, v28
	v_sub_f16_e32 v26, v22, v26
	v_sub_f16_e32 v19, v32, v19
	;; [unrolled: 1-line block ×4, first 2 shown]
	v_add_f16_e32 v22, v59, v22
	v_add_f16_e32 v32, v60, v32
	;; [unrolled: 1-line block ×3, first 2 shown]
	v_add_f16_sdwa v45, v45, v28 dst_sel:DWORD dst_unused:UNUSED_PAD src0_sel:WORD_1 src1_sel:DWORD
	v_mul_f16_e32 v50, 0x3a52, v52
	v_mul_f16_e32 v52, 0x3a52, v54
	;; [unrolled: 1-line block ×8, first 2 shown]
	v_fma_f16 v20, v20, s7, v36
	v_fma_f16 v28, v28, s7, v45
	;; [unrolled: 1-line block ×4, first 2 shown]
	v_fma_f16 v54, v55, s5, -v54
	v_fma_f16 v59, v56, s5, -v59
	;; [unrolled: 1-line block ×4, first 2 shown]
	v_fma_f16 v55, v26, s15, v60
	v_fma_f16 v56, v19, s15, v63
	v_pack_b32_f16 v27, v27, v31
	v_pack_b32_f16 v21, v25, v21
	v_fma_f16 v24, v24, s4, -v60
	v_fma_f16 v30, v30, s4, -v63
	v_fma_f16 v26, v26, s10, -v64
	v_fma_f16 v19, v19, s10, -v65
	v_add_f16_e32 v49, v49, v20
	v_add_f16_e32 v51, v51, v28
	;; [unrolled: 1-line block ×6, first 2 shown]
	v_fma_f16 v50, v22, s11, v55
	v_fma_f16 v52, v32, s11, v56
	ds_write_b32 v1, v27 offset:1152
	v_pack_b32_f16 v27, v57, v58
	ds_write_b32 v1, v21 offset:5760
	v_pack_b32_f16 v21, v47, v48
	v_fma_f16 v24, v22, s11, v24
	v_fma_f16 v30, v32, s11, v30
	;; [unrolled: 1-line block ×4, first 2 shown]
	v_add_f16_e32 v26, v52, v49
	v_sub_f16_e32 v32, v51, v50
	v_pack_b32_f16 v46, v53, v46
	ds_write_b32 v1, v27 offset:2304
	v_pack_b32_f16 v27, v61, v62
	v_pack_b32_f16 v23, v29, v23
	ds_write_b32 v1, v21 offset:6912
	v_pack_b32_f16 v21, v36, v45
	v_add_f16_e32 v55, v19, v20
	v_sub_f16_e32 v56, v28, v22
	ds_write_b32 v1, v46
	ds_write_b32 v1, v27 offset:3456
	ds_write_b32 v1, v23 offset:4608
	ds_write_b32 v35, v21
	v_pack_b32_f16 v21, v26, v32
	v_sub_f16_e32 v60, v54, v30
	v_add_f16_e32 v63, v24, v59
	v_sub_f16_e32 v19, v20, v19
	v_add_f16_e32 v20, v22, v28
	ds_write_b32 v35, v21 offset:1152
	v_pack_b32_f16 v21, v55, v56
	v_add_f16_e32 v30, v30, v54
	v_sub_f16_e32 v24, v59, v24
	v_sub_f16_e32 v22, v49, v52
	v_add_f16_e32 v28, v50, v51
	ds_write_b32 v35, v21 offset:2304
	v_pack_b32_f16 v21, v60, v63
	v_pack_b32_f16 v19, v19, v20
	ds_write_b32 v35, v21 offset:3456
	v_pack_b32_f16 v21, v30, v24
	ds_write_b32 v35, v19 offset:5760
	;; [unrolled: 2-line block ×3, first 2 shown]
	ds_write_b32 v35, v19 offset:6912
	s_and_saveexec_b64 s[2:3], s[0:1]
	s_cbranch_execz .LBB0_17
; %bb.16:
	v_subrev_u32_e32 v19, 64, v0
	v_cndmask_b32_e64 v19, v19, v18, s[0:1]
	v_mul_i32_i24_e32 v19, 6, v19
	v_mov_b32_e32 v20, 0
	v_lshlrev_b64 v[19:20], 2, v[19:20]
	v_mov_b32_e32 v21, s9
	v_add_co_u32_e64 v23, s[0:1], s8, v19
	v_addc_co_u32_e64 v24, s[0:1], v21, v20, s[0:1]
	global_load_dwordx4 v[19:22], v[23:24], off offset:1144
	global_load_dwordx2 v[25:26], v[23:24], off offset:1160
	s_waitcnt vmcnt(1)
	v_mul_f16_sdwa v23, v40, v19 dst_sel:DWORD dst_unused:UNUSED_PAD src0_sel:DWORD src1_sel:WORD_1
	s_waitcnt vmcnt(0)
	v_mul_f16_sdwa v24, v44, v26 dst_sel:DWORD dst_unused:UNUSED_PAD src0_sel:DWORD src1_sel:WORD_1
	v_mul_f16_sdwa v27, v11, v22 dst_sel:DWORD dst_unused:UNUSED_PAD src0_sel:DWORD src1_sel:WORD_1
	;; [unrolled: 1-line block ×11, first 2 shown]
	v_fma_f16 v7, v7, v19, v23
	v_fma_f16 v17, v17, v26, v24
	;; [unrolled: 1-line block ×6, first 2 shown]
	v_fma_f16 v26, v44, v26, -v31
	v_fma_f16 v19, v40, v19, -v32
	;; [unrolled: 1-line block ×6, first 2 shown]
	v_sub_f16_e32 v22, v7, v17
	v_sub_f16_e32 v25, v9, v23
	;; [unrolled: 1-line block ×3, first 2 shown]
	v_add_f16_e32 v28, v19, v26
	v_add_f16_e32 v29, v21, v11
	;; [unrolled: 1-line block ×6, first 2 shown]
	v_sub_f16_e32 v17, v19, v26
	v_sub_f16_e32 v11, v11, v21
	;; [unrolled: 1-line block ×5, first 2 shown]
	v_add_f16_e32 v21, v25, v27
	v_sub_f16_e32 v23, v28, v29
	v_add_f16_e32 v25, v30, v28
	v_add_f16_e32 v32, v13, v7
	v_sub_f16_e32 v24, v29, v30
	v_sub_f16_e32 v26, v7, v9
	;; [unrolled: 1-line block ×5, first 2 shown]
	v_add_f16_e32 v11, v11, v15
	v_sub_f16_e32 v7, v13, v7
	v_mul_f16_e32 v13, 0x3846, v20
	v_add_f16_e32 v20, v21, v22
	v_mul_f16_e32 v21, 0x3a52, v23
	v_add_f16_e32 v23, v29, v25
	v_add_f16_e32 v9, v9, v32
	v_sub_f16_e32 v15, v15, v17
	v_sub_f16_e32 v27, v27, v22
	;; [unrolled: 1-line block ×3, first 2 shown]
	v_mul_f16_e32 v22, 0x2b26, v24
	v_mul_f16_e32 v25, 0x3a52, v26
	;; [unrolled: 1-line block ×4, first 2 shown]
	v_add_f16_e32 v11, v11, v17
	v_add_f16_e32 v38, v38, v23
	;; [unrolled: 1-line block ×3, first 2 shown]
	v_mul_f16_e32 v17, 0xbb00, v15
	v_mul_f16_e32 v30, 0xbb00, v27
	v_fma_f16 v32, v19, s15, v13
	v_fma_f16 v31, v31, s6, v25
	;; [unrolled: 1-line block ×3, first 2 shown]
	v_fma_f16 v25, v7, s14, -v25
	v_fma_f16 v23, v23, s7, v38
	v_fma_f16 v9, v9, s7, v37
	v_fma_f16 v17, v36, s10, -v17
	v_fma_f16 v22, v28, s5, -v22
	;; [unrolled: 1-line block ×6, first 2 shown]
	v_fma_f16 v30, v20, s11, v32
	v_fma_f16 v32, v11, s11, v39
	;; [unrolled: 1-line block ×3, first 2 shown]
	v_add_f16_e32 v22, v22, v23
	v_fma_f16 v13, v20, s11, v13
	v_fma_f16 v11, v11, s11, v15
	v_add_f16_e32 v7, v7, v9
	v_fma_f16 v24, v24, s6, v21
	v_fma_f16 v21, v28, s14, -v21
	v_fma_f16 v19, v20, s11, v19
	v_add_f16_e32 v31, v31, v9
	v_add_f16_e32 v25, v25, v9
	v_sub_f16_e32 v20, v22, v13
	v_add_f16_e32 v9, v11, v7
	v_add_f16_e32 v13, v13, v22
	v_sub_f16_e32 v7, v7, v11
	v_add_f16_e32 v21, v21, v23
	v_pack_b32_f16 v7, v7, v13
	v_add_f16_e32 v24, v24, v23
	v_add_f16_e32 v41, v19, v21
	v_sub_f16_e32 v36, v25, v17
	ds_write_b32 v1, v7 offset:4352
	v_pack_b32_f16 v7, v9, v20
	v_add_f16_e32 v39, v30, v24
	v_sub_f16_e32 v40, v31, v32
	v_sub_f16_e32 v11, v21, v19
	v_add_f16_e32 v15, v17, v25
	v_sub_f16_e32 v17, v24, v30
	v_add_f16_e32 v19, v32, v31
	ds_write_b32 v1, v7 offset:5504
	v_pack_b32_f16 v7, v36, v41
	v_pack_b32_f16 v21, v37, v38
	;; [unrolled: 1-line block ×4, first 2 shown]
	ds_write_b32 v1, v7 offset:6656
	v_pack_b32_f16 v7, v40, v39
	ds_write_b32 v1, v21 offset:896
	ds_write_b32 v1, v17 offset:2048
	;; [unrolled: 1-line block ×4, first 2 shown]
.LBB0_17:
	s_or_b64 exec, exec, s[2:3]
	s_waitcnt lgkmcnt(0)
	s_barrier
	ds_read_b32 v9, v33
	s_add_u32 s4, s8, 0x1f78
	s_addc_u32 s5, s9, 0
	v_sub_u32_e32 v20, v34, v5
	v_cmp_ne_u32_e64 s[0:1], 0, v0
                                        ; implicit-def: $vgpr7
                                        ; implicit-def: $vgpr1
                                        ; implicit-def: $vgpr11
	s_and_saveexec_b64 s[2:3], s[0:1]
	s_xor_b64 s[2:3], exec, s[2:3]
	s_cbranch_execz .LBB0_19
; %bb.18:
	v_mov_b32_e32 v1, 0
	v_lshlrev_b64 v[21:22], 2, v[0:1]
	v_mov_b32_e32 v1, s5
	v_add_co_u32_e64 v21, s[0:1], s4, v21
	v_addc_co_u32_e64 v22, s[0:1], v1, v22, s[0:1]
	global_load_dword v1, v[21:22], off
	ds_read_b32 v5, v20 offset:8064
	s_mov_b32 s0, 0xffff
	s_waitcnt lgkmcnt(0)
	v_pk_add_f16 v7, v9, v5 neg_lo:[0,1] neg_hi:[0,1]
	v_pk_add_f16 v5, v5, v9
	v_bfi_b32 v9, s0, v7, v5
	v_bfi_b32 v5, s0, v5, v7
	v_pk_mul_f16 v7, v9, 0.5 op_sel_hi:[1,0]
	v_pk_mul_f16 v9, v5, 0.5 op_sel_hi:[1,0]
	s_waitcnt vmcnt(0)
	v_pk_mul_f16 v11, v1, v7 op_sel:[1,0]
	v_pk_mul_f16 v13, v1, v7 op_sel_hi:[0,1]
	v_pk_fma_f16 v1, v5, 0.5, v11 op_sel_hi:[1,0,1]
	v_sub_f16_e32 v5, v9, v11
	v_sub_f16_sdwa v9, v11, v9 dst_sel:DWORD dst_unused:UNUSED_PAD src0_sel:WORD_1 src1_sel:WORD_1
	v_pk_add_f16 v7, v1, v13 op_sel:[0,1] op_sel_hi:[1,0]
	v_pk_add_f16 v11, v1, v13 op_sel:[0,1] op_sel_hi:[1,0] neg_lo:[0,1] neg_hi:[0,1]
	v_sub_f16_sdwa v1, v5, v13 dst_sel:DWORD dst_unused:UNUSED_PAD src0_sel:DWORD src1_sel:WORD_1
	v_bfi_b32 v7, s0, v7, v11
	v_sub_f16_e32 v11, v9, v13
                                        ; implicit-def: $vgpr9
.LBB0_19:
	s_andn2_saveexec_b64 s[0:1], s[2:3]
	s_cbranch_execz .LBB0_21
; %bb.20:
	ds_read_u16 v5, v34 offset:4034
	s_waitcnt lgkmcnt(1)
	v_alignbit_b32 v7, s0, v9, 16
	v_pk_add_f16 v7, v7, v9
	v_sub_f16_sdwa v1, v9, v9 dst_sel:DWORD dst_unused:UNUSED_PAD src0_sel:DWORD src1_sel:WORD_1
	v_pack_b32_f16 v7, v7, 0
	s_waitcnt lgkmcnt(0)
	v_xor_b32_e32 v5, 0x8000, v5
	v_mov_b32_e32 v11, 0
	ds_write_b16 v34, v5 offset:4034
.LBB0_21:
	s_or_b64 exec, exec, s[0:1]
	v_mov_b32_e32 v5, 0
	v_lshlrev_b64 v[21:22], 2, v[4:5]
	v_mov_b32_e32 v4, s5
	v_add_co_u32_e64 v21, s[0:1], s4, v21
	v_addc_co_u32_e64 v22, s[0:1], v4, v22, s[0:1]
	global_load_dword v4, v[21:22], off
	v_mov_b32_e32 v19, v5
	v_lshlrev_b64 v[21:22], 2, v[18:19]
	ds_write_b16 v20, v11 offset:8066
	ds_write_b32 v33, v7
	ds_write_b16 v20, v1 offset:8064
	v_mov_b32_e32 v1, s5
	v_add_co_u32_e64 v21, s[0:1], s4, v21
	v_addc_co_u32_e64 v22, s[0:1], v1, v22, s[0:1]
	global_load_dword v1, v[21:22], off
	v_mov_b32_e32 v17, v5
	v_lshlrev_b64 v[21:22], 2, v[16:17]
	v_mov_b32_e32 v36, s5
	v_add_co_u32_e64 v21, s[0:1], s4, v21
	v_mov_b32_e32 v7, v5
	v_addc_co_u32_e64 v22, s[0:1], v36, v22, s[0:1]
	ds_read_b32 v41, v35
	ds_read_b32 v42, v20 offset:7616
	v_lshlrev_b64 v[31:32], 2, v[6:7]
	global_load_dword v7, v[21:22], off
	v_mov_b32_e32 v15, v5
	v_lshlrev_b64 v[23:24], 2, v[14:15]
	v_mov_b32_e32 v13, v5
	v_mov_b32_e32 v37, s5
	v_lshlrev_b64 v[25:26], 2, v[12:13]
	v_add_co_u32_e64 v21, s[0:1], s4, v23
	v_mov_b32_e32 v11, v5
	v_addc_co_u32_e64 v22, s[0:1], v37, v24, s[0:1]
	v_mov_b32_e32 v19, s5
	v_lshlrev_b64 v[27:28], 2, v[10:11]
	v_add_co_u32_e64 v23, s[0:1], s4, v25
	s_waitcnt lgkmcnt(5)
	v_mov_b32_e32 v9, v5
	v_addc_co_u32_e64 v24, s[0:1], v19, v26, s[0:1]
	v_mov_b32_e32 v38, s5
	v_lshlrev_b64 v[29:30], 2, v[8:9]
	v_add_co_u32_e64 v25, s[0:1], s4, v27
	v_addc_co_u32_e64 v26, s[0:1], v38, v28, s[0:1]
	v_mov_b32_e32 v39, s5
	v_add_co_u32_e64 v27, s[0:1], s4, v29
	v_addc_co_u32_e64 v28, s[0:1], v39, v30, s[0:1]
	v_mov_b32_e32 v40, s5
	v_add_co_u32_e64 v29, s[0:1], s4, v31
	v_addc_co_u32_e64 v30, s[0:1], v40, v32, s[0:1]
	global_load_dword v9, v[21:22], off
	global_load_dword v11, v[23:24], off
	;; [unrolled: 1-line block ×5, first 2 shown]
	s_mov_b32 s2, 0xffff
	s_waitcnt lgkmcnt(0)
	v_pk_add_f16 v19, v41, v42 neg_lo:[0,1] neg_hi:[0,1]
	v_pk_add_f16 v21, v41, v42
	v_bfi_b32 v22, s2, v19, v21
	v_bfi_b32 v19, s2, v21, v19
	v_pk_mul_f16 v21, v22, 0.5 op_sel_hi:[1,0]
	v_pk_mul_f16 v19, v19, 0.5 op_sel_hi:[1,0]
	s_waitcnt vmcnt(7)
	v_pk_fma_f16 v22, v4, v21, v19 op_sel:[1,0,0]
	v_pk_mul_f16 v23, v4, v21 op_sel_hi:[0,1]
	v_pk_fma_f16 v24, v4, v21, v19 op_sel:[1,0,0] neg_lo:[1,0,0] neg_hi:[1,0,0]
	v_pk_fma_f16 v4, v4, v21, v19 op_sel:[1,0,0] neg_lo:[0,0,1] neg_hi:[0,0,1]
	v_pk_add_f16 v19, v22, v23 op_sel:[0,1] op_sel_hi:[1,0]
	v_pk_add_f16 v21, v22, v23 op_sel:[0,1] op_sel_hi:[1,0] neg_lo:[0,1] neg_hi:[0,1]
	v_pk_add_f16 v22, v24, v23 op_sel:[0,1] op_sel_hi:[1,0] neg_lo:[0,1] neg_hi:[0,1]
	v_pk_add_f16 v4, v4, v23 op_sel:[0,1] op_sel_hi:[1,0] neg_lo:[0,1] neg_hi:[0,1]
	v_bfi_b32 v19, s2, v19, v21
	v_bfi_b32 v4, s2, v22, v4
	ds_write_b32 v35, v19
	ds_write_b32 v20, v4 offset:7616
	v_lshl_add_u32 v4, v18, 2, v34
	ds_read_b32 v18, v4
	ds_read_b32 v19, v20 offset:7168
	s_waitcnt lgkmcnt(0)
	v_pk_add_f16 v21, v18, v19 neg_lo:[0,1] neg_hi:[0,1]
	v_pk_add_f16 v18, v18, v19
	v_bfi_b32 v19, s2, v21, v18
	v_bfi_b32 v18, s2, v18, v21
	v_pk_mul_f16 v19, v19, 0.5 op_sel_hi:[1,0]
	v_pk_mul_f16 v18, v18, 0.5 op_sel_hi:[1,0]
	s_waitcnt vmcnt(6)
	v_pk_fma_f16 v21, v1, v19, v18 op_sel:[1,0,0]
	v_pk_mul_f16 v22, v1, v19 op_sel_hi:[0,1]
	v_pk_add_f16 v23, v21, v22 op_sel:[0,1] op_sel_hi:[1,0]
	v_pk_add_f16 v21, v21, v22 op_sel:[0,1] op_sel_hi:[1,0] neg_lo:[0,1] neg_hi:[0,1]
	v_bfi_b32 v21, s2, v23, v21
	v_pk_fma_f16 v23, v1, v19, v18 op_sel:[1,0,0] neg_lo:[1,0,0] neg_hi:[1,0,0]
	v_pk_fma_f16 v1, v1, v19, v18 op_sel:[1,0,0] neg_lo:[0,0,1] neg_hi:[0,0,1]
	v_pk_add_f16 v23, v23, v22 op_sel:[0,1] op_sel_hi:[1,0] neg_lo:[0,1] neg_hi:[0,1]
	v_pk_add_f16 v1, v1, v22 op_sel:[0,1] op_sel_hi:[1,0] neg_lo:[0,1] neg_hi:[0,1]
	v_bfi_b32 v1, s2, v23, v1
	ds_write_b32 v4, v21
	ds_write_b32 v20, v1 offset:7168
	v_lshl_add_u32 v1, v16, 2, v34
	ds_read_b32 v4, v1
	ds_read_b32 v16, v20 offset:6720
	s_waitcnt lgkmcnt(0)
	v_pk_add_f16 v18, v4, v16 neg_lo:[0,1] neg_hi:[0,1]
	v_pk_add_f16 v4, v4, v16
	v_bfi_b32 v16, s2, v18, v4
	v_bfi_b32 v4, s2, v4, v18
	v_pk_mul_f16 v16, v16, 0.5 op_sel_hi:[1,0]
	v_pk_mul_f16 v4, v4, 0.5 op_sel_hi:[1,0]
	s_waitcnt vmcnt(5)
	v_pk_fma_f16 v18, v7, v16, v4 op_sel:[1,0,0]
	v_pk_mul_f16 v19, v7, v16 op_sel_hi:[0,1]
	v_pk_add_f16 v21, v18, v19 op_sel:[0,1] op_sel_hi:[1,0]
	v_pk_add_f16 v18, v18, v19 op_sel:[0,1] op_sel_hi:[1,0] neg_lo:[0,1] neg_hi:[0,1]
	v_bfi_b32 v18, s2, v21, v18
	v_pk_fma_f16 v21, v7, v16, v4 op_sel:[1,0,0] neg_lo:[1,0,0] neg_hi:[1,0,0]
	v_pk_fma_f16 v4, v7, v16, v4 op_sel:[1,0,0] neg_lo:[0,0,1] neg_hi:[0,0,1]
	v_pk_add_f16 v21, v21, v19 op_sel:[0,1] op_sel_hi:[1,0] neg_lo:[0,1] neg_hi:[0,1]
	v_pk_add_f16 v4, v4, v19 op_sel:[0,1] op_sel_hi:[1,0] neg_lo:[0,1] neg_hi:[0,1]
	ds_write_b32 v1, v18
	v_bfi_b32 v1, s2, v21, v4
	ds_write_b32 v20, v1 offset:6720
	v_lshl_add_u32 v1, v14, 2, v34
	ds_read_b32 v4, v1
	ds_read_b32 v7, v20 offset:6272
	s_waitcnt lgkmcnt(0)
	v_pk_add_f16 v14, v4, v7 neg_lo:[0,1] neg_hi:[0,1]
	v_pk_add_f16 v4, v4, v7
	v_bfi_b32 v7, s2, v14, v4
	v_bfi_b32 v4, s2, v4, v14
	v_pk_mul_f16 v7, v7, 0.5 op_sel_hi:[1,0]
	v_pk_mul_f16 v4, v4, 0.5 op_sel_hi:[1,0]
	s_waitcnt vmcnt(4)
	v_pk_fma_f16 v14, v9, v7, v4 op_sel:[1,0,0]
	v_pk_mul_f16 v16, v9, v7 op_sel_hi:[0,1]
	v_pk_add_f16 v18, v14, v16 op_sel:[0,1] op_sel_hi:[1,0]
	v_pk_add_f16 v14, v14, v16 op_sel:[0,1] op_sel_hi:[1,0] neg_lo:[0,1] neg_hi:[0,1]
	v_bfi_b32 v14, s2, v18, v14
	v_pk_fma_f16 v18, v9, v7, v4 op_sel:[1,0,0] neg_lo:[1,0,0] neg_hi:[1,0,0]
	v_pk_fma_f16 v4, v9, v7, v4 op_sel:[1,0,0] neg_lo:[0,0,1] neg_hi:[0,0,1]
	v_pk_add_f16 v18, v18, v16 op_sel:[0,1] op_sel_hi:[1,0] neg_lo:[0,1] neg_hi:[0,1]
	v_pk_add_f16 v4, v4, v16 op_sel:[0,1] op_sel_hi:[1,0] neg_lo:[0,1] neg_hi:[0,1]
	ds_write_b32 v1, v14
	v_bfi_b32 v1, s2, v18, v4
	ds_write_b32 v20, v1 offset:6272
	v_lshl_add_u32 v1, v12, 2, v34
	ds_read_b32 v4, v1
	ds_read_b32 v7, v20 offset:5824
	s_waitcnt lgkmcnt(0)
	v_pk_add_f16 v9, v4, v7 neg_lo:[0,1] neg_hi:[0,1]
	v_pk_add_f16 v4, v4, v7
	v_bfi_b32 v7, s2, v9, v4
	v_bfi_b32 v4, s2, v4, v9
	v_pk_mul_f16 v7, v7, 0.5 op_sel_hi:[1,0]
	v_pk_mul_f16 v4, v4, 0.5 op_sel_hi:[1,0]
	s_waitcnt vmcnt(3)
	v_pk_fma_f16 v9, v11, v7, v4 op_sel:[1,0,0]
	v_pk_mul_f16 v12, v11, v7 op_sel_hi:[0,1]
	v_pk_add_f16 v14, v9, v12 op_sel:[0,1] op_sel_hi:[1,0]
	v_pk_add_f16 v9, v9, v12 op_sel:[0,1] op_sel_hi:[1,0] neg_lo:[0,1] neg_hi:[0,1]
	v_bfi_b32 v9, s2, v14, v9
	v_pk_fma_f16 v14, v11, v7, v4 op_sel:[1,0,0] neg_lo:[1,0,0] neg_hi:[1,0,0]
	v_pk_fma_f16 v4, v11, v7, v4 op_sel:[1,0,0] neg_lo:[0,0,1] neg_hi:[0,0,1]
	v_pk_add_f16 v14, v14, v12 op_sel:[0,1] op_sel_hi:[1,0] neg_lo:[0,1] neg_hi:[0,1]
	v_pk_add_f16 v4, v4, v12 op_sel:[0,1] op_sel_hi:[1,0] neg_lo:[0,1] neg_hi:[0,1]
	ds_write_b32 v1, v9
	v_bfi_b32 v1, s2, v14, v4
	ds_write_b32 v20, v1 offset:5824
	v_lshl_add_u32 v1, v10, 2, v34
	ds_read_b32 v4, v1
	ds_read_b32 v7, v20 offset:5376
	s_waitcnt lgkmcnt(0)
	v_pk_add_f16 v9, v4, v7 neg_lo:[0,1] neg_hi:[0,1]
	v_pk_add_f16 v4, v4, v7
	v_bfi_b32 v7, s2, v9, v4
	v_bfi_b32 v4, s2, v4, v9
	v_pk_mul_f16 v7, v7, 0.5 op_sel_hi:[1,0]
	v_pk_mul_f16 v4, v4, 0.5 op_sel_hi:[1,0]
	s_waitcnt vmcnt(2)
	v_pk_fma_f16 v9, v13, v7, v4 op_sel:[1,0,0]
	v_pk_mul_f16 v10, v13, v7 op_sel_hi:[0,1]
	v_pk_add_f16 v11, v9, v10 op_sel:[0,1] op_sel_hi:[1,0]
	v_pk_add_f16 v9, v9, v10 op_sel:[0,1] op_sel_hi:[1,0] neg_lo:[0,1] neg_hi:[0,1]
	v_bfi_b32 v9, s2, v11, v9
	v_pk_fma_f16 v11, v13, v7, v4 op_sel:[1,0,0] neg_lo:[1,0,0] neg_hi:[1,0,0]
	v_pk_fma_f16 v4, v13, v7, v4 op_sel:[1,0,0] neg_lo:[0,0,1] neg_hi:[0,0,1]
	v_pk_add_f16 v11, v11, v10 op_sel:[0,1] op_sel_hi:[1,0] neg_lo:[0,1] neg_hi:[0,1]
	v_pk_add_f16 v4, v4, v10 op_sel:[0,1] op_sel_hi:[1,0] neg_lo:[0,1] neg_hi:[0,1]
	ds_write_b32 v1, v9
	v_bfi_b32 v1, s2, v11, v4
	ds_write_b32 v20, v1 offset:5376
	v_lshl_add_u32 v1, v8, 2, v34
	ds_read_b32 v4, v1
	ds_read_b32 v7, v20 offset:4928
	s_waitcnt lgkmcnt(0)
	v_pk_add_f16 v8, v4, v7 neg_lo:[0,1] neg_hi:[0,1]
	v_pk_add_f16 v4, v4, v7
	v_bfi_b32 v7, s2, v8, v4
	v_bfi_b32 v4, s2, v4, v8
	v_pk_mul_f16 v7, v7, 0.5 op_sel_hi:[1,0]
	v_pk_mul_f16 v4, v4, 0.5 op_sel_hi:[1,0]
	s_waitcnt vmcnt(1)
	v_pk_fma_f16 v8, v15, v7, v4 op_sel:[1,0,0]
	v_pk_mul_f16 v9, v15, v7 op_sel_hi:[0,1]
	v_pk_add_f16 v10, v8, v9 op_sel:[0,1] op_sel_hi:[1,0]
	v_pk_add_f16 v8, v8, v9 op_sel:[0,1] op_sel_hi:[1,0] neg_lo:[0,1] neg_hi:[0,1]
	v_bfi_b32 v8, s2, v10, v8
	v_pk_fma_f16 v10, v15, v7, v4 op_sel:[1,0,0] neg_lo:[1,0,0] neg_hi:[1,0,0]
	v_pk_fma_f16 v4, v15, v7, v4 op_sel:[1,0,0] neg_lo:[0,0,1] neg_hi:[0,0,1]
	v_pk_add_f16 v10, v10, v9 op_sel:[0,1] op_sel_hi:[1,0] neg_lo:[0,1] neg_hi:[0,1]
	v_pk_add_f16 v4, v4, v9 op_sel:[0,1] op_sel_hi:[1,0] neg_lo:[0,1] neg_hi:[0,1]
	ds_write_b32 v1, v8
	v_bfi_b32 v1, s2, v10, v4
	ds_write_b32 v20, v1 offset:4928
	v_lshl_add_u32 v1, v6, 2, v34
	ds_read_b32 v4, v1
	ds_read_b32 v6, v20 offset:4480
	s_waitcnt lgkmcnt(0)
	v_pk_add_f16 v7, v4, v6 neg_lo:[0,1] neg_hi:[0,1]
	v_pk_add_f16 v4, v4, v6
	v_bfi_b32 v6, s2, v7, v4
	v_bfi_b32 v4, s2, v4, v7
	v_pk_mul_f16 v6, v6, 0.5 op_sel_hi:[1,0]
	v_pk_mul_f16 v4, v4, 0.5 op_sel_hi:[1,0]
	s_waitcnt vmcnt(0)
	v_pk_fma_f16 v7, v17, v6, v4 op_sel:[1,0,0]
	v_pk_mul_f16 v8, v17, v6 op_sel_hi:[0,1]
	v_pk_add_f16 v9, v7, v8 op_sel:[0,1] op_sel_hi:[1,0]
	v_pk_add_f16 v7, v7, v8 op_sel:[0,1] op_sel_hi:[1,0] neg_lo:[0,1] neg_hi:[0,1]
	v_bfi_b32 v7, s2, v9, v7
	v_pk_fma_f16 v9, v17, v6, v4 op_sel:[1,0,0] neg_lo:[1,0,0] neg_hi:[1,0,0]
	v_pk_fma_f16 v4, v17, v6, v4 op_sel:[1,0,0] neg_lo:[0,0,1] neg_hi:[0,0,1]
	v_pk_add_f16 v9, v9, v8 op_sel:[0,1] op_sel_hi:[1,0] neg_lo:[0,1] neg_hi:[0,1]
	v_pk_add_f16 v4, v4, v8 op_sel:[0,1] op_sel_hi:[1,0] neg_lo:[0,1] neg_hi:[0,1]
	ds_write_b32 v1, v7
	v_bfi_b32 v1, s2, v9, v4
	ds_write_b32 v20, v1 offset:4480
	s_waitcnt lgkmcnt(0)
	s_barrier
	s_and_saveexec_b64 s[0:1], vcc
	s_cbranch_execz .LBB0_24
; %bb.22:
	v_mov_b32_e32 v1, v5
	ds_read2_b32 v[7:8], v33 offset1:112
	v_mov_b32_e32 v4, s13
	v_add_co_u32_e32 v6, vcc, s12, v2
	v_addc_co_u32_e32 v2, vcc, v4, v3, vcc
	v_lshlrev_b64 v[3:4], 2, v[0:1]
	v_add_u32_e32 v1, 0x200, v33
	ds_read2_b32 v[9:10], v1 offset0:96 offset1:208
	v_add_co_u32_e32 v3, vcc, v6, v3
	v_addc_co_u32_e32 v4, vcc, v2, v4, vcc
	s_waitcnt lgkmcnt(1)
	global_store_dword v[3:4], v7, off
	global_store_dword v[3:4], v8, off offset:448
	s_waitcnt lgkmcnt(0)
	global_store_dword v[3:4], v9, off offset:896
	global_store_dword v[3:4], v10, off offset:1344
	v_add_u32_e32 v1, 0x600, v33
	ds_read2_b32 v[7:8], v1 offset0:64 offset1:176
	v_add_u32_e32 v1, 0xa00, v33
	ds_read2_b32 v[9:10], v1 offset0:32 offset1:144
	;; [unrolled: 2-line block ×3, first 2 shown]
	s_waitcnt lgkmcnt(2)
	global_store_dword v[3:4], v7, off offset:1792
	global_store_dword v[3:4], v8, off offset:2240
	s_waitcnt lgkmcnt(1)
	global_store_dword v[3:4], v9, off offset:2688
	global_store_dword v[3:4], v10, off offset:3136
	;; [unrolled: 3-line block ×3, first 2 shown]
	v_add_u32_e32 v1, 0x1000, v33
	s_movk_i32 s0, 0x1000
	ds_read2_b32 v[7:8], v1 offset0:96 offset1:208
	v_add_co_u32_e32 v9, vcc, s0, v3
	v_add_u32_e32 v1, 0x1400, v33
	v_addc_co_u32_e32 v10, vcc, 0, v4, vcc
	ds_read2_b32 v[3:4], v1 offset0:64 offset1:176
	v_add_u32_e32 v1, 0x1800, v33
	ds_read2_b32 v[11:12], v1 offset0:32 offset1:144
	s_waitcnt lgkmcnt(2)
	global_store_dword v[9:10], v7, off offset:384
	global_store_dword v[9:10], v8, off offset:832
	s_waitcnt lgkmcnt(1)
	global_store_dword v[9:10], v3, off offset:1280
	global_store_dword v[9:10], v4, off offset:1728
	;; [unrolled: 3-line block ×3, first 2 shown]
	v_or_b32_e32 v4, 0x700, v0
	v_add_u32_e32 v1, 0x1c00, v33
	ds_read2_b32 v[7:8], v1 offset1:112
	v_lshlrev_b64 v[3:4], 2, v[4:5]
	s_movk_i32 s0, 0x6f
	v_add_co_u32_e32 v3, vcc, v6, v3
	v_addc_co_u32_e32 v4, vcc, v2, v4, vcc
	v_cmp_eq_u32_e32 vcc, s0, v0
	s_waitcnt lgkmcnt(0)
	global_store_dword v[3:4], v7, off
	global_store_dword v[9:10], v8, off offset:3520
	s_and_b64 exec, exec, vcc
	s_cbranch_execz .LBB0_24
; %bb.23:
	ds_read_b32 v3, v33 offset:7620
	v_add_co_u32_e32 v0, vcc, 0x1000, v6
	v_addc_co_u32_e32 v1, vcc, 0, v2, vcc
	s_waitcnt lgkmcnt(0)
	global_store_dword v[0:1], v3, off offset:3968
.LBB0_24:
	s_endpgm
	.section	.rodata,"a",@progbits
	.p2align	6, 0x0
	.amdhsa_kernel fft_rtc_back_len2016_factors_2_2_2_2_2_3_3_7_wgs_224_tpt_112_halfLds_half_ip_CI_unitstride_sbrr_R2C_dirReg
		.amdhsa_group_segment_fixed_size 0
		.amdhsa_private_segment_fixed_size 0
		.amdhsa_kernarg_size 88
		.amdhsa_user_sgpr_count 6
		.amdhsa_user_sgpr_private_segment_buffer 1
		.amdhsa_user_sgpr_dispatch_ptr 0
		.amdhsa_user_sgpr_queue_ptr 0
		.amdhsa_user_sgpr_kernarg_segment_ptr 1
		.amdhsa_user_sgpr_dispatch_id 0
		.amdhsa_user_sgpr_flat_scratch_init 0
		.amdhsa_user_sgpr_private_segment_size 0
		.amdhsa_uses_dynamic_stack 0
		.amdhsa_system_sgpr_private_segment_wavefront_offset 0
		.amdhsa_system_sgpr_workgroup_id_x 1
		.amdhsa_system_sgpr_workgroup_id_y 0
		.amdhsa_system_sgpr_workgroup_id_z 0
		.amdhsa_system_sgpr_workgroup_info 0
		.amdhsa_system_vgpr_workitem_id 0
		.amdhsa_next_free_vgpr 80
		.amdhsa_next_free_sgpr 22
		.amdhsa_reserve_vcc 1
		.amdhsa_reserve_flat_scratch 0
		.amdhsa_float_round_mode_32 0
		.amdhsa_float_round_mode_16_64 0
		.amdhsa_float_denorm_mode_32 3
		.amdhsa_float_denorm_mode_16_64 3
		.amdhsa_dx10_clamp 1
		.amdhsa_ieee_mode 1
		.amdhsa_fp16_overflow 0
		.amdhsa_exception_fp_ieee_invalid_op 0
		.amdhsa_exception_fp_denorm_src 0
		.amdhsa_exception_fp_ieee_div_zero 0
		.amdhsa_exception_fp_ieee_overflow 0
		.amdhsa_exception_fp_ieee_underflow 0
		.amdhsa_exception_fp_ieee_inexact 0
		.amdhsa_exception_int_div_zero 0
	.end_amdhsa_kernel
	.text
.Lfunc_end0:
	.size	fft_rtc_back_len2016_factors_2_2_2_2_2_3_3_7_wgs_224_tpt_112_halfLds_half_ip_CI_unitstride_sbrr_R2C_dirReg, .Lfunc_end0-fft_rtc_back_len2016_factors_2_2_2_2_2_3_3_7_wgs_224_tpt_112_halfLds_half_ip_CI_unitstride_sbrr_R2C_dirReg
                                        ; -- End function
	.section	.AMDGPU.csdata,"",@progbits
; Kernel info:
; codeLenInByte = 14144
; NumSgprs: 26
; NumVgprs: 80
; ScratchSize: 0
; MemoryBound: 0
; FloatMode: 240
; IeeeMode: 1
; LDSByteSize: 0 bytes/workgroup (compile time only)
; SGPRBlocks: 3
; VGPRBlocks: 19
; NumSGPRsForWavesPerEU: 26
; NumVGPRsForWavesPerEU: 80
; Occupancy: 3
; WaveLimiterHint : 1
; COMPUTE_PGM_RSRC2:SCRATCH_EN: 0
; COMPUTE_PGM_RSRC2:USER_SGPR: 6
; COMPUTE_PGM_RSRC2:TRAP_HANDLER: 0
; COMPUTE_PGM_RSRC2:TGID_X_EN: 1
; COMPUTE_PGM_RSRC2:TGID_Y_EN: 0
; COMPUTE_PGM_RSRC2:TGID_Z_EN: 0
; COMPUTE_PGM_RSRC2:TIDIG_COMP_CNT: 0
	.type	__hip_cuid_eeee233be2654832,@object ; @__hip_cuid_eeee233be2654832
	.section	.bss,"aw",@nobits
	.globl	__hip_cuid_eeee233be2654832
__hip_cuid_eeee233be2654832:
	.byte	0                               ; 0x0
	.size	__hip_cuid_eeee233be2654832, 1

	.ident	"AMD clang version 19.0.0git (https://github.com/RadeonOpenCompute/llvm-project roc-6.4.0 25133 c7fe45cf4b819c5991fe208aaa96edf142730f1d)"
	.section	".note.GNU-stack","",@progbits
	.addrsig
	.addrsig_sym __hip_cuid_eeee233be2654832
	.amdgpu_metadata
---
amdhsa.kernels:
  - .args:
      - .actual_access:  read_only
        .address_space:  global
        .offset:         0
        .size:           8
        .value_kind:     global_buffer
      - .offset:         8
        .size:           8
        .value_kind:     by_value
      - .actual_access:  read_only
        .address_space:  global
        .offset:         16
        .size:           8
        .value_kind:     global_buffer
      - .actual_access:  read_only
        .address_space:  global
        .offset:         24
        .size:           8
        .value_kind:     global_buffer
      - .offset:         32
        .size:           8
        .value_kind:     by_value
      - .actual_access:  read_only
        .address_space:  global
        .offset:         40
        .size:           8
        .value_kind:     global_buffer
      - .actual_access:  read_only
        .address_space:  global
        .offset:         48
        .size:           8
        .value_kind:     global_buffer
      - .offset:         56
        .size:           4
        .value_kind:     by_value
      - .actual_access:  read_only
        .address_space:  global
        .offset:         64
        .size:           8
        .value_kind:     global_buffer
      - .actual_access:  read_only
        .address_space:  global
        .offset:         72
        .size:           8
        .value_kind:     global_buffer
      - .address_space:  global
        .offset:         80
        .size:           8
        .value_kind:     global_buffer
    .group_segment_fixed_size: 0
    .kernarg_segment_align: 8
    .kernarg_segment_size: 88
    .language:       OpenCL C
    .language_version:
      - 2
      - 0
    .max_flat_workgroup_size: 224
    .name:           fft_rtc_back_len2016_factors_2_2_2_2_2_3_3_7_wgs_224_tpt_112_halfLds_half_ip_CI_unitstride_sbrr_R2C_dirReg
    .private_segment_fixed_size: 0
    .sgpr_count:     26
    .sgpr_spill_count: 0
    .symbol:         fft_rtc_back_len2016_factors_2_2_2_2_2_3_3_7_wgs_224_tpt_112_halfLds_half_ip_CI_unitstride_sbrr_R2C_dirReg.kd
    .uniform_work_group_size: 1
    .uses_dynamic_stack: false
    .vgpr_count:     80
    .vgpr_spill_count: 0
    .wavefront_size: 64
amdhsa.target:   amdgcn-amd-amdhsa--gfx906
amdhsa.version:
  - 1
  - 2
...

	.end_amdgpu_metadata
